;; amdgpu-corpus repo=zjin-lcf/HeCBench kind=compiled arch=gfx1250 opt=O3
	.amdgcn_target "amdgcn-amd-amdhsa--gfx1250"
	.amdhsa_code_object_version 6
	.text
	.protected	_Z7kernel1iiiiiiiiiiiiddPKdS0_S0_S0_S0_PdS0_S0_S0_S0_S0_S0_S0_ ; -- Begin function _Z7kernel1iiiiiiiiiiiiddPKdS0_S0_S0_S0_PdS0_S0_S0_S0_S0_S0_S0_
	.globl	_Z7kernel1iiiiiiiiiiiiddPKdS0_S0_S0_S0_PdS0_S0_S0_S0_S0_S0_S0_
	.p2align	8
	.type	_Z7kernel1iiiiiiiiiiiiddPKdS0_S0_S0_S0_PdS0_S0_S0_S0_S0_S0_S0_,@function
_Z7kernel1iiiiiiiiiiiiddPKdS0_S0_S0_S0_PdS0_S0_S0_S0_S0_S0_S0_: ; @_Z7kernel1iiiiiiiiiiiiddPKdS0_S0_S0_S0_PdS0_S0_S0_S0_S0_S0_S0_
; %bb.0:
	s_clause 0x1
	s_load_b64 s[2:3], s[0:1], 0xb4
	s_load_b256 s[20:27], s[0:1], 0x0
	s_bfe_u32 s8, ttmp6, 0x40010
	s_bfe_u32 s5, ttmp6, 0x40014
	s_and_b32 s7, ttmp7, 0xffff
	s_bfe_u32 s11, ttmp6, 0x4000c
	s_add_co_i32 s8, s8, 1
	s_lshr_b32 s4, ttmp7, 16
	s_bfe_u32 s9, ttmp6, 0x40004
	s_add_co_i32 s5, s5, 1
	s_add_co_i32 s11, s11, 1
	s_mul_i32 s8, s7, s8
	v_and_b32_e32 v54, 0x3ff, v0
	s_bfe_u32 s6, ttmp6, 0x40008
	s_and_b32 s10, ttmp6, 15
	s_mul_i32 s5, s4, s5
	s_add_co_i32 s9, s9, s8
	s_mul_i32 s8, ttmp9, s11
	s_getreg_b32 s11, hwreg(HW_REG_IB_STS2, 6, 4)
	s_add_co_i32 s6, s6, s5
	s_wait_kmcnt 0x0
	s_and_b32 s3, s3, 0xffff
	s_lshr_b32 s5, s2, 16
	s_and_b32 s2, s2, 0xffff
	s_add_co_i32 s10, s10, s8
	s_cmp_eq_u32 s11, 0
	v_add_nc_u32_e32 v45, s20, v54
	v_bfe_u32 v44, v0, 10, 10
	s_cselect_b32 s33, ttmp9, s10
	s_cselect_b32 s40, s7, s9
	v_bfe_u32 v0, v0, 20, 10
	s_mul_i32 s33, s33, s2
	s_mul_i32 s40, s40, s5
	s_cselect_b32 s2, s4, s6
	v_add_nc_u32_e32 v10, s33, v45
	v_add3_u32 v12, s40, s22, v44
	s_mul_i32 s2, s2, s3
	s_mov_b32 s39, 1
	v_add3_u32 v126, s2, s24, v0
	v_cmp_gt_i32_e32 vcc_lo, s21, v10
	v_cmp_gt_i32_e64 s2, s23, v12
	s_delay_alu instid0(VALU_DEP_3) | instskip(SKIP_1) | instid1(SALU_CYCLE_1)
	v_cmp_gt_i32_e64 s3, s25, v126
	s_and_b32 s2, vcc_lo, s2
	s_and_b32 s2, s2, s3
	s_delay_alu instid0(SALU_CYCLE_1)
	s_and_saveexec_b32 s3, s2
	s_cbranch_execz .LBB0_12
; %bb.1:
	s_clause 0x4
	s_load_b128 s[44:47], s[0:1], 0x98
	s_load_b64 s[2:3], s[0:1], 0x80
	s_load_b256 s[4:11], s[0:1], 0x60
	s_load_b256 s[12:19], s[0:1], 0x40
	s_load_b128 s[28:31], s[0:1], 0x20
	s_sub_co_i32 s38, s27, s26
	v_subrev_nc_u32_e32 v4, s26, v10
	s_not_b32 s21, s38
	s_add_co_i32 s38, s38, 1
	v_add_nc_u32_e32 v55, -2, v10
	v_mul_lo_u32 v20, v12, s38
	v_dual_ashrrev_i32 v11, 31, v10 :: v_dual_add_nc_u32 v56, -1, v10
	v_dual_add_nc_u32 v57, 1, v10 :: v_dual_add_nc_u32 v58, 2, v10
	s_delay_alu instid0(VALU_DEP_3)
	v_ashrrev_i32_e32 v21, 31, v20
	s_wait_kmcnt 0x0
	s_sub_co_i32 s41, s29, s28
	s_mul_i32 s23, s28, s21
	s_add_co_i32 s41, s41, 1
	v_subrev_nc_u32_e32 v8, s28, v12
	s_mul_i32 s21, s41, s38
	s_add_co_i32 s22, s22, s29
	s_mul_i32 s24, s21, s30
	s_lshl_b32 s29, s30, 1
	s_add_co_i32 s24, s26, s24
	s_sub_co_i32 s29, s31, s29
	s_sub_co_i32 s24, s23, s24
	s_delay_alu instid0(SALU_CYCLE_1) | instskip(SKIP_2) | instid1(VALU_DEP_2)
	v_dual_ashrrev_i32 v5, 31, v4 :: v_dual_add_nc_u32 v13, s24, v10
	v_ashrrev_i32_e32 v9, 31, v8
	s_add_co_i32 s29, s29, 1
	v_lshl_add_u64 v[6:7], v[4:5], 3, s[44:45]
	s_delay_alu instid0(VALU_DEP_3) | instskip(NEXT) | instid1(VALU_DEP_3)
	v_add_nc_u32_e32 v29, v20, v13
	v_lshl_add_u64 v[14:15], v[8:9], 3, s[46:47]
	s_clause 0x2
	global_load_b128 v[0:3], v[6:7], off
	global_load_b128 v[66:69], v[6:7], off offset:-16
	global_load_b64 v[64:65], v4, s[44:45] offset:16 scale_offset
	s_clause 0x2
	global_load_b128 v[4:7], v[14:15], off
	global_load_b128 v[72:75], v[14:15], off offset:-16
	global_load_b64 v[62:63], v8, s[46:47] offset:16 scale_offset
	s_wait_xcnt 0x0
	v_mul_lo_u32 v8, v126, s21
	s_delay_alu instid0(VALU_DEP_1) | instskip(SKIP_3) | instid1(SALU_CYCLE_1)
	v_add_nc_u32_e32 v28, v29, v8
	global_load_b64 v[14:15], v28, s[4:5] scale_offset
	s_wait_xcnt 0x0
	s_sub_co_i32 s4, s31, s30
	s_add_co_i32 s4, s4, 1
	s_delay_alu instid0(SALU_CYCLE_1) | instskip(NEXT) | instid1(SALU_CYCLE_1)
	s_mul_i32 s4, s4, s21
	s_ashr_i32 s5, s4, 31
	s_lshl_b32 s34, s4, 1
	s_mul_i32 s36, s4, 3
	s_ashr_i32 s35, s34, 31
	s_ashr_i32 s37, s36, 31
	s_wait_loadcnt 0x0
	scratch_store_b64 off, v[14:15], off offset:192 ; 8-byte Folded Spill
	s_wait_xcnt 0x0
	v_div_scale_f64 v[14:15], null, v[4:5], v[4:5], 1.0
	s_delay_alu instid0(VALU_DEP_1) | instskip(SKIP_1) | instid1(TRANS32_DEP_1)
	v_rcp_f64_e32 v[16:17], v[14:15]
	v_nop
	v_fma_f64 v[18:19], -v[14:15], v[16:17], 1.0
	s_delay_alu instid0(VALU_DEP_1) | instskip(NEXT) | instid1(VALU_DEP_1)
	v_fmac_f64_e32 v[16:17], v[16:17], v[18:19]
	v_fma_f64 v[18:19], -v[14:15], v[16:17], 1.0
	s_delay_alu instid0(VALU_DEP_1) | instskip(SKIP_1) | instid1(VALU_DEP_1)
	v_fmac_f64_e32 v[16:17], v[16:17], v[18:19]
	v_div_scale_f64 v[18:19], vcc_lo, 1.0, v[4:5], 1.0
	v_mul_f64_e32 v[22:23], v[18:19], v[16:17]
	s_delay_alu instid0(VALU_DEP_1) | instskip(NEXT) | instid1(VALU_DEP_1)
	v_fma_f64 v[14:15], -v[14:15], v[22:23], v[18:19]
	v_div_fmas_f64 v[14:15], v[14:15], v[16:17], v[22:23]
	s_delay_alu instid0(VALU_DEP_1) | instskip(SKIP_1) | instid1(VALU_DEP_1)
	v_div_fixup_f64 v[52:53], v[14:15], v[4:5], 1.0
	v_div_scale_f64 v[14:15], null, v[0:1], v[0:1], 1.0
	v_rcp_f64_e32 v[16:17], v[14:15]
	v_nop
	s_delay_alu instid0(TRANS32_DEP_1) | instskip(NEXT) | instid1(VALU_DEP_1)
	v_fma_f64 v[18:19], -v[14:15], v[16:17], 1.0
	v_fmac_f64_e32 v[16:17], v[16:17], v[18:19]
	s_delay_alu instid0(VALU_DEP_1) | instskip(NEXT) | instid1(VALU_DEP_1)
	v_fma_f64 v[18:19], -v[14:15], v[16:17], 1.0
	v_fmac_f64_e32 v[16:17], v[16:17], v[18:19]
	v_div_scale_f64 v[18:19], vcc_lo, 1.0, v[0:1], 1.0
	s_delay_alu instid0(VALU_DEP_1) | instskip(NEXT) | instid1(VALU_DEP_1)
	v_mul_f64_e32 v[22:23], v[18:19], v[16:17]
	v_fma_f64 v[14:15], -v[14:15], v[22:23], v[18:19]
	s_delay_alu instid0(VALU_DEP_1) | instskip(NEXT) | instid1(VALU_DEP_1)
	v_div_fmas_f64 v[14:15], v[14:15], v[16:17], v[22:23]
	v_div_fixup_f64 v[60:61], v[14:15], v[0:1], 1.0
	v_add3_u32 v14, v8, v20, s24
	s_sub_co_i32 s24, s24, s4
	s_delay_alu instid0(SALU_CYCLE_1) | instskip(NEXT) | instid1(VALU_DEP_1)
	s_ashr_i32 s25, s24, 31
	v_add_nc_u32_e32 v9, v14, v55
	s_clause 0x1
	global_load_b64 v[90:91], v9, s[14:15] scale_offset
	global_load_b64 v[16:17], v9, s[16:17] scale_offset
	s_wait_xcnt 0x0
	v_ashrrev_i32_e32 v9, 31, v8
	v_mul_f64_e32 v[84:85], v[60:61], v[52:53]
	s_wait_loadcnt 0x0
	scratch_store_b64 off, v[16:17], off offset:708 ; 8-byte Folded Spill
	v_fma_f64 v[18:19], 2.0, v[90:91], v[16:17]
	s_wait_xcnt 0x0
	v_add_nc_u64_e32 v[16:17], s[24:25], v[10:11]
	v_add_nc_u32_e32 v11, v14, v57
	s_sub_co_i32 s25, 0, s26
	s_delay_alu instid0(VALU_DEP_2) | instskip(NEXT) | instid1(VALU_DEP_1)
	v_add_nc_u64_e32 v[16:17], v[16:17], v[20:21]
	v_add_nc_u64_e32 v[16:17], v[16:17], v[8:9]
	v_add_nc_u32_e32 v9, v14, v56
	s_delay_alu instid0(VALU_DEP_2) | instskip(NEXT) | instid1(VALU_DEP_1)
	v_add_nc_u64_e32 v[16:17], s[4:5], v[16:17]
	v_lshl_add_u64 v[16:17], v[16:17], 3, s[18:19]
	global_load_b128 v[96:99], v[16:17], off offset:-16
	s_clause 0x1
	global_load_b64 v[88:89], v9, s[14:15] scale_offset
	global_load_b64 v[16:17], v9, s[16:17] scale_offset
	s_wait_xcnt 0x0
	v_add_nc_u32_e32 v9, s24, v10
	v_add_nc_u32_e32 v10, v14, v58
	s_wait_loadcnt 0x2
	v_mul_f64_e32 v[22:23], v[18:19], v[96:97]
	s_wait_loadcnt 0x0
	scratch_store_b64 off, v[16:17], off offset:328 ; 8-byte Folded Spill
	s_wait_xcnt 0x0
	v_fma_f64 v[16:17], 2.0, v[88:89], v[16:17]
	v_mul_f64_e32 v[24:25], v[96:97], v[22:23]
	scratch_store_b64 off, v[16:17], off offset:344 ; 8-byte Folded Spill
	s_clause 0x1
	global_load_b64 v[30:31], v28, s[14:15] scale_offset
	global_load_b64 v[36:37], v28, s[16:17] scale_offset
	s_wait_xcnt 0x0
	v_add_nc_u32_e32 v28, v20, v9
	s_delay_alu instid0(VALU_DEP_1) | instskip(NEXT) | instid1(VALU_DEP_1)
	v_add_nc_u32_e32 v32, v28, v8
	v_dual_mul_f64 v[22:23], v[16:17], v[98:99] :: v_dual_add_nc_u32 v16, s4, v32
	s_delay_alu instid0(VALU_DEP_1) | instskip(NEXT) | instid1(VALU_DEP_1)
	v_ashrrev_i32_e32 v17, 31, v16
	v_lshlrev_b64_e32 v[38:39], 3, v[16:17]
	s_delay_alu instid0(VALU_DEP_1)
	v_add_nc_u64_e32 v[20:21], s[18:19], v[38:39]
	s_clause 0x1
	global_load_b128 v[108:111], v[20:21], off
	global_load_b64 v[102:103], v16, s[18:19] offset:16 scale_offset
	s_clause 0x1
	global_load_b64 v[112:113], v11, s[14:15] scale_offset
	global_load_b64 v[18:19], v11, s[16:17] scale_offset
	v_mul_f64_e32 v[26:27], v[98:99], v[22:23]
	s_delay_alu instid0(VALU_DEP_1) | instskip(SKIP_3) | instid1(VALU_DEP_1)
	v_mul_f64_e32 v[34:35], v[68:69], v[26:27]
	s_wait_loadcnt 0x4
	v_fmac_f64_e32 v[36:37], 2.0, v[30:31]
	s_wait_loadcnt 0x3
	v_mul_f64_e32 v[36:37], v[36:37], v[108:109]
	s_wait_loadcnt 0x0
	scratch_store_b64 off, v[18:19], off offset:440 ; 8-byte Folded Spill
	s_wait_xcnt 0x0
	v_fma_f64 v[18:19], 2.0, v[112:113], v[18:19]
	v_mul_f64_e32 v[42:43], v[108:109], v[36:37]
	scratch_store_b64 off, v[18:19], off offset:456 ; 8-byte Folded Spill
	v_mul_f64_e32 v[40:41], v[18:19], v[110:111]
	s_clause 0x1
	global_load_b64 v[106:107], v10, s[14:15] scale_offset
	global_load_b64 v[10:11], v10, s[16:17] scale_offset
	v_dual_mul_f64 v[36:37], v[0:1], v[42:43] :: v_dual_ashrrev_i32 v33, 31, v32
	v_mul_f64_e32 v[42:43], v[4:5], v[42:43]
	v_mul_f64_e32 v[40:41], v[110:111], v[40:41]
	s_delay_alu instid0(VALU_DEP_3) | instskip(NEXT) | instid1(VALU_DEP_2)
	v_fma_f64 v[14:15], v[66:67], v[24:25], v[36:37]
	v_mul_f64_e32 v[46:47], v[2:3], v[40:41]
	s_delay_alu instid0(VALU_DEP_2) | instskip(NEXT) | instid1(VALU_DEP_2)
	v_fmamk_f64 v[14:15], v[14:15], 0xbfe80000, v[34:35]
	v_fma_f64 v[48:49], v[66:67], v[24:25], v[46:47]
	v_fma_f64 v[24:25], v[68:69], v[26:27], v[36:37]
	s_delay_alu instid0(VALU_DEP_1)
	v_fmac_f64_e32 v[48:49], 0x40080000, v[24:25]
	v_fma_f64 v[24:25], v[2:3], v[40:41], v[36:37]
	s_wait_loadcnt 0x0
	scratch_store_b64 off, v[10:11], off offset:384 ; 8-byte Folded Spill
	s_wait_xcnt 0x0
	v_fma_f64 v[10:11], 2.0, v[106:107], v[10:11]
	scratch_store_b64 off, v[10:11], off offset:408 ; 8-byte Folded Spill
	s_wait_xcnt 0x0
	v_mul_f64_e32 v[10:11], v[10:11], v[102:103]
	s_delay_alu instid0(VALU_DEP_1) | instskip(NEXT) | instid1(VALU_DEP_1)
	v_mul_f64_e32 v[10:11], v[102:103], v[10:11]
	v_fmac_f64_e32 v[34:35], v[64:65], v[10:11]
	v_fmac_f64_e32 v[36:37], v[64:65], v[10:11]
	v_add_nc_u64_e32 v[10:11], s[12:13], v[38:39]
	s_delay_alu instid0(VALU_DEP_3) | instskip(NEXT) | instid1(VALU_DEP_3)
	v_fmac_f64_e32 v[34:35], 0x40080000, v[24:25]
	v_fmac_f64_e32 v[46:47], 0xbfe80000, v[36:37]
	s_clause 0x2
	global_load_b128 v[24:27], v[10:11], off
	global_load_b128 v[36:39], v[10:11], off offset:-16
	global_load_b64 v[10:11], v16, s[12:13] offset:16 scale_offset
	s_clause 0x5
	scratch_store_b64 off, v[16:17], off offset:232
	scratch_store_b128 off, v[96:99], off offset:304
	scratch_store_b64 off, v[88:89], off offset:336
	scratch_store_b64 off, v[106:107], off offset:400
	;; [unrolled: 1-line block ×4, first 2 shown]
	s_wait_loadcnt 0x1
	v_add_f64_e64 v[38:39], v[38:39], -v[24:25]
	v_add_f64_e64 v[36:37], v[36:37], -v[24:25]
	s_wait_loadcnt 0x0
	v_add_f64_e64 v[10:11], v[10:11], -v[24:25]
	s_delay_alu instid0(VALU_DEP_3) | instskip(NEXT) | instid1(VALU_DEP_1)
	v_mul_f64_e32 v[38:39], v[48:49], v[38:39]
	v_fmac_f64_e32 v[38:39], v[14:15], v[36:37]
	v_add_f64_e64 v[14:15], v[26:27], -v[24:25]
	s_delay_alu instid0(VALU_DEP_1) | instskip(NEXT) | instid1(VALU_DEP_1)
	v_fmac_f64_e32 v[38:39], v[34:35], v[14:15]
	v_fmac_f64_e32 v[38:39], v[46:47], v[10:11]
	s_delay_alu instid0(VALU_DEP_1) | instskip(NEXT) | instid1(VALU_DEP_1)
	v_mul_f64_e32 v[10:11], 0x3fc5555555555555, v[38:39]
	v_fma_f64 v[22:23], v[52:53], v[10:11], 0
	v_add_nc_u32_e32 v10, -2, v12
	s_delay_alu instid0(VALU_DEP_1) | instskip(NEXT) | instid1(VALU_DEP_1)
	v_mul_lo_u32 v14, v10, s38
	v_add_nc_u32_e32 v59, v8, v14
	v_add3_u32 v51, v14, v9, v8
	s_delay_alu instid0(VALU_DEP_2) | instskip(SKIP_1) | instid1(VALU_DEP_2)
	v_dual_add_nc_u32 v15, s38, v14 :: v_dual_add_nc_u32 v12, v59, v13
	s_wait_xcnt 0x5
	v_add_nc_u32_e32 v16, s4, v51
	s_delay_alu instid0(VALU_DEP_2)
	v_add_nc_u32_e32 v70, v8, v15
	v_add3_u32 v77, v15, v9, v8
	v_lshl_add_u32 v18, s38, 1, v15
	global_load_b64 v[86:87], v12, s[14:15] scale_offset
	global_load_b64 v[78:79], v16, s[18:19] scale_offset
	v_add_nc_u32_e32 v14, v70, v13
	v_dual_add_nc_u32 v17, s4, v77 :: v_dual_add_nc_u32 v71, v8, v18
	global_load_b64 v[94:95], v14, s[14:15] scale_offset
	global_load_b64 v[80:81], v17, s[18:19] scale_offset
	v_add_nc_u32_e32 v15, v71, v13
	global_load_b64 v[100:101], v15, s[14:15] scale_offset
	s_wait_loadcnt 0x3
	v_mul_f64_e32 v[10:11], v[86:87], v[78:79]
	s_delay_alu instid0(VALU_DEP_1) | instskip(SKIP_2) | instid1(VALU_DEP_1)
	v_mul_f64_e32 v[36:37], v[78:79], v[10:11]
	s_wait_loadcnt 0x1
	v_mul_f64_e32 v[10:11], v[94:95], v[80:81]
	v_mul_f64_e32 v[38:39], v[80:81], v[10:11]
	;; [unrolled: 1-line block ×3, first 2 shown]
	s_delay_alu instid0(VALU_DEP_2) | instskip(NEXT) | instid1(VALU_DEP_2)
	v_mul_f64_e32 v[34:35], v[74:75], v[38:39]
	v_mul_f64_e32 v[26:27], v[108:109], v[10:11]
	v_add3_u32 v108, v18, v9, v8
	s_delay_alu instid0(VALU_DEP_1) | instskip(SKIP_4) | instid1(VALU_DEP_1)
	v_add_nc_u32_e32 v19, s4, v108
	global_load_b64 v[82:83], v19, s[18:19] scale_offset
	v_mul_f64_e32 v[20:21], v[4:5], v[26:27]
	s_wait_loadcnt 0x0
	v_mul_f64_e32 v[10:11], v[100:101], v[82:83]
	v_mul_f64_e32 v[40:41], v[82:83], v[10:11]
	v_add_nc_u32_e32 v10, s38, v18
	scratch_store_b64 off, v[38:39], off offset:504 ; 8-byte Folded Spill
	v_add_nc_u32_e32 v76, v8, v10
	v_add3_u32 v109, v10, v9, v8
	s_delay_alu instid0(VALU_DEP_2) | instskip(NEXT) | instid1(VALU_DEP_2)
	v_add_nc_u32_e32 v13, v76, v13
	v_add_nc_u32_e32 v18, s4, v109
	scratch_store_b64 off, v[36:37], off offset:480 ; 8-byte Folded Spill
	global_load_b64 v[104:105], v13, s[14:15] scale_offset
	global_load_b64 v[92:93], v18, s[18:19] scale_offset
	v_mul_f64_e32 v[30:31], v[6:7], v[40:41]
	scratch_store_b64 off, v[40:41], off offset:512 ; 8-byte Folded Spill
	v_fma_f64 v[10:11], v[72:73], v[36:37], v[30:31]
	s_wait_loadcnt 0x0
	v_mul_f64_e32 v[8:9], v[104:105], v[92:93]
	s_delay_alu instid0(VALU_DEP_1) | instskip(SKIP_3) | instid1(VALU_DEP_2)
	v_mul_f64_e32 v[46:47], v[92:93], v[8:9]
	v_fma_f64 v[8:9], v[72:73], v[36:37], v[20:21]
	s_wait_xcnt 0x3
	v_fma_f64 v[36:37], v[74:75], v[38:39], v[20:21]
	v_fmamk_f64 v[8:9], v[8:9], 0xbfe80000, v[34:35]
	s_delay_alu instid0(VALU_DEP_2) | instskip(SKIP_3) | instid1(VALU_DEP_2)
	v_fmac_f64_e32 v[10:11], 0x40080000, v[36:37]
	v_fmac_f64_e32 v[34:35], v[62:63], v[46:47]
	v_fma_f64 v[36:37], v[6:7], v[40:41], v[20:21]
	v_fmac_f64_e32 v[20:21], v[62:63], v[46:47]
	v_fmac_f64_e32 v[34:35], 0x40080000, v[36:37]
	s_delay_alu instid0(VALU_DEP_2)
	v_fmac_f64_e32 v[30:31], 0xbfe80000, v[20:21]
	s_clause 0x1
	global_load_b64 v[20:21], v16, s[12:13] scale_offset
	global_load_b64 v[36:37], v17, s[12:13] scale_offset
	s_wait_xcnt 0x0
	v_mov_b64_e32 v[16:17], v[110:111]
	s_clause 0x1
	scratch_store_b64 off, v[112:113], off offset:448
	scratch_store_b128 off, v[14:17], off offset:424
	s_wait_loadcnt 0x1
	v_add_f64_e64 v[20:21], v[20:21], -v[24:25]
	s_wait_loadcnt 0x0
	v_add_f64_e64 v[36:37], v[36:37], -v[24:25]
	s_delay_alu instid0(VALU_DEP_1) | instskip(NEXT) | instid1(VALU_DEP_1)
	v_mul_f64_e32 v[36:37], v[10:11], v[36:37]
	v_fmac_f64_e32 v[36:37], v[8:9], v[20:21]
	global_load_b64 v[20:21], v19, s[12:13] scale_offset
	s_wait_loadcnt 0x0
	v_add_f64_e64 v[20:21], v[20:21], -v[24:25]
	s_delay_alu instid0(VALU_DEP_1) | instskip(SKIP_3) | instid1(VALU_DEP_1)
	v_fmac_f64_e32 v[36:37], v[34:35], v[20:21]
	global_load_b64 v[20:21], v18, s[12:13] scale_offset
	s_wait_loadcnt 0x0
	v_add_f64_e64 v[20:21], v[20:21], -v[24:25]
	v_fmac_f64_e32 v[36:37], v[30:31], v[20:21]
	s_delay_alu instid0(VALU_DEP_1) | instskip(NEXT) | instid1(VALU_DEP_1)
	v_mul_f64_e32 v[20:21], 0x3fc5555555555555, v[36:37]
	v_fmac_f64_e32 v[22:23], v[60:61], v[20:21]
	v_mul_f64_e32 v[20:21], v[90:91], v[96:97]
	s_delay_alu instid0(VALU_DEP_1)
	v_mul_f64_e32 v[40:41], v[96:97], v[20:21]
	v_dual_mul_f64 v[20:21], v[88:89], v[98:99] :: v_dual_add_nc_u32 v88, s34, v32
	scratch_store_b64 off, v[46:47], off offset:520 ; 8-byte Folded Spill
	v_dual_mul_f64 v[24:25], v[0:1], v[26:27] :: v_dual_ashrrev_i32 v89, 31, v88
	v_mul_f64_e32 v[26:27], v[112:113], v[110:111]
	scratch_store_b64 off, v[40:41], off offset:488 ; 8-byte Folded Spill
	s_wait_xcnt 0x2
	v_mul_f64_e32 v[18:19], v[98:99], v[20:21]
	s_clause 0x1
	scratch_store_b128 off, v[66:69], off offset:264
	scratch_store_b64 off, v[18:19], off offset:464
	v_mul_f64_e32 v[16:17], v[110:111], v[26:27]
	v_mul_f64_e32 v[26:27], v[106:107], v[102:103]
	;; [unrolled: 1-line block ×3, first 2 shown]
	s_delay_alu instid0(VALU_DEP_3) | instskip(SKIP_1) | instid1(VALU_DEP_3)
	v_mul_f64_e32 v[36:37], v[2:3], v[16:17]
	s_wait_xcnt 0x3
	v_mul_f64_e32 v[46:47], v[102:103], v[26:27]
	v_fma_f64 v[26:27], v[66:67], v[40:41], v[24:25]
	s_clause 0x2
	scratch_store_b64 off, v[16:17], off offset:472
	scratch_store_b64 off, v[64:65], off offset:248
	;; [unrolled: 1-line block ×3, first 2 shown]
	s_wait_xcnt 0x5
	v_fma_f64 v[40:41], v[66:67], v[40:41], v[36:37]
	v_fmamk_f64 v[38:39], v[26:27], 0xbfe80000, v[20:21]
	v_fma_f64 v[26:27], v[68:69], v[18:19], v[24:25]
	v_fmac_f64_e32 v[20:21], v[64:65], v[46:47]
	s_wait_xcnt 0x3
	v_dual_add_nc_u32 v68, s34, v51 :: v_dual_add_nc_u32 v18, s34, v108
	s_delay_alu instid0(VALU_DEP_1) | instskip(NEXT) | instid1(VALU_DEP_4)
	v_dual_ashrrev_i32 v69, 31, v68 :: v_dual_ashrrev_i32 v19, 31, v18
	v_fmac_f64_e32 v[40:41], 0x40080000, v[26:27]
	v_fma_f64 v[26:27], v[2:3], v[16:17], v[24:25]
	v_fmac_f64_e32 v[24:25], v[64:65], v[46:47]
	s_wait_xcnt 0x0
	v_lshl_add_u64 v[46:47], v[88:89], 3, s[12:13]
	s_delay_alu instid0(VALU_DEP_3) | instskip(NEXT) | instid1(VALU_DEP_3)
	v_fmac_f64_e32 v[20:21], 0x40080000, v[26:27]
	v_fmac_f64_e32 v[36:37], 0xbfe80000, v[24:25]
	v_add_nc_u64_e32 v[24:25], s[34:35], v[32:33]
	s_delay_alu instid0(VALU_DEP_1)
	v_lshl_add_u64 v[24:25], v[24:25], 3, s[12:13]
	s_clause 0x2
	global_load_b64 v[64:65], v[24:25], off offset:-16
	global_load_b128 v[24:27], v[46:47], off offset:8
	global_load_b128 v[46:49], v[46:47], off offset:-8
	global_load_b64 v[16:17], v12, s[16:17] scale_offset
	scratch_store_b64 off, v[86:87], off offset:288 ; 8-byte Folded Spill
	s_wait_loadcnt 0x0
	scratch_store_b64 off, v[16:17], off offset:48 ; 8-byte Folded Spill
	s_wait_xcnt 0x3
	v_add_f64_e64 v[46:47], v[46:47], -v[48:49]
	v_add_f64_e64 v[64:65], v[64:65], -v[48:49]
	;; [unrolled: 1-line block ×3, first 2 shown]
	s_wait_xcnt 0x0
	v_fma_f64 v[16:17], 2.0, v[86:87], v[16:17]
	scratch_store_b64 off, v[78:79], off    ; 8-byte Folded Spill
	v_mul_f64_e32 v[46:47], v[40:41], v[46:47]
	scratch_store_b64 off, v[16:17], off offset:544 ; 8-byte Folded Spill
	v_fmac_f64_e32 v[46:47], v[38:39], v[64:65]
	s_delay_alu instid0(VALU_DEP_1) | instskip(SKIP_1) | instid1(VALU_DEP_1)
	v_fmac_f64_e32 v[46:47], v[20:21], v[24:25]
	v_add_f64_e64 v[24:25], v[26:27], -v[48:49]
	v_fmac_f64_e32 v[46:47], v[36:37], v[24:25]
	s_delay_alu instid0(VALU_DEP_1) | instskip(NEXT) | instid1(VALU_DEP_1)
	v_mul_f64_e32 v[24:25], 0x3fc5555555555555, v[46:47]
	v_fma_f64 v[112:113], v[52:53], v[24:25], 0
	v_mul_f64_e32 v[24:25], v[78:79], v[16:17]
	global_load_b64 v[16:17], v14, s[16:17] scale_offset
	scratch_store_b64 off, v[94:95], off offset:296 ; 8-byte Folded Spill
	s_wait_loadcnt 0x0
	scratch_store_b64 off, v[16:17], off offset:32 ; 8-byte Folded Spill
	v_mul_f64_e32 v[24:25], v[78:79], v[24:25]
	global_load_b64 v[14:15], v15, s[16:17] scale_offset
	s_wait_xcnt 0x1
	v_fma_f64 v[16:17], 2.0, v[94:95], v[16:17]
	scratch_store_b64 off, v[80:81], off offset:8 ; 8-byte Folded Spill
	v_fma_f64 v[66:67], v[72:73], v[24:25], v[42:43]
	scratch_store_b64 off, v[16:17], off offset:528 ; 8-byte Folded Spill
	v_mul_f64_e32 v[26:27], v[80:81], v[16:17]
	s_wait_xcnt 0x0
	v_add_nc_u32_e32 v16, s34, v77
	scratch_store_b64 off, v[100:101], off offset:320 ; 8-byte Folded Spill
	s_wait_loadcnt 0x0
	scratch_store_b64 off, v[14:15], off offset:40 ; 8-byte Folded Spill
	v_dual_mul_f64 v[26:27], v[80:81], v[26:27] :: v_dual_ashrrev_i32 v17, 31, v16
	global_load_b64 v[12:13], v13, s[16:17] scale_offset
	s_wait_xcnt 0x1
	v_fma_f64 v[14:15], 2.0, v[100:101], v[14:15]
	scratch_store_b64 off, v[82:83], off offset:16 ; 8-byte Folded Spill
	v_mul_f64_e32 v[46:47], v[74:75], v[26:27]
	v_fma_f64 v[26:27], v[74:75], v[26:27], v[42:43]
	scratch_store_b64 off, v[14:15], off offset:536 ; 8-byte Folded Spill
	s_wait_xcnt 0x0
	v_mul_f64_e32 v[14:15], v[82:83], v[14:15]
	scratch_store_b64 off, v[104:105], off offset:360 ; 8-byte Folded Spill
	s_wait_loadcnt 0x0
	scratch_store_b64 off, v[12:13], off offset:56 ; 8-byte Folded Spill
	v_mul_f64_e32 v[14:15], v[82:83], v[14:15]
	v_fmamk_f64 v[66:67], v[66:67], 0xbfe80000, v[46:47]
	s_clause 0x6
	scratch_store_b64 off, v[62:63], off offset:240
	scratch_store_b32 off, v51, off offset:368
	scratch_store_b32 off, v77, off offset:380
	;; [unrolled: 1-line block ×4, first 2 shown]
	scratch_store_b64 off, v[92:93], off offset:24
	scratch_store_b128 off, v[72:75], off offset:216
	s_wait_xcnt 0x7
	v_fma_f64 v[12:13], 2.0, v[104:105], v[12:13]
	v_mul_f64_e32 v[64:65], v[6:7], v[14:15]
	v_fma_f64 v[14:15], v[6:7], v[14:15], v[42:43]
	scratch_store_b64 off, v[12:13], off offset:560 ; 8-byte Folded Spill
	s_wait_xcnt 0x0
	v_mul_f64_e32 v[12:13], v[92:93], v[12:13]
	v_fma_f64 v[24:25], v[72:73], v[24:25], v[64:65]
	s_delay_alu instid0(VALU_DEP_2) | instskip(NEXT) | instid1(VALU_DEP_2)
	v_mul_f64_e32 v[12:13], v[92:93], v[12:13]
	v_fmac_f64_e32 v[24:25], 0x40080000, v[26:27]
	s_delay_alu instid0(VALU_DEP_2) | instskip(SKIP_3) | instid1(VALU_DEP_1)
	v_fmac_f64_e32 v[46:47], v[62:63], v[12:13]
	v_fmac_f64_e32 v[42:43], v[62:63], v[12:13]
	global_load_b64 v[12:13], v68, s[12:13] scale_offset
	v_add_nc_u32_e32 v62, s4, v88
	v_ashrrev_i32_e32 v63, 31, v62
	v_fmac_f64_e32 v[46:47], 0x40080000, v[14:15]
	global_load_b64 v[14:15], v16, s[12:13] scale_offset
	v_fmac_f64_e32 v[64:65], 0xbfe80000, v[42:43]
	s_wait_loadcnt 0x1
	v_add_f64_e64 v[12:13], v[12:13], -v[48:49]
	s_wait_loadcnt 0x0
	v_add_f64_e64 v[14:15], v[14:15], -v[48:49]
	s_delay_alu instid0(VALU_DEP_1) | instskip(SKIP_1) | instid1(VALU_DEP_2)
	v_mul_f64_e32 v[14:15], v[14:15], v[24:25]
	v_lshl_add_u64 v[24:25], v[62:63], 3, s[12:13]
	v_fmac_f64_e32 v[14:15], v[12:13], v[66:67]
	global_load_b64 v[12:13], v18, s[12:13] scale_offset
	v_add_nc_u32_e32 v66, s23, v45
	s_wait_loadcnt 0x0
	v_add_f64_e64 v[12:13], v[12:13], -v[48:49]
	s_delay_alu instid0(VALU_DEP_1) | instskip(SKIP_4) | instid1(VALU_DEP_1)
	v_fmac_f64_e32 v[14:15], v[12:13], v[46:47]
	v_add_nc_u32_e32 v46, s34, v109
	global_load_b64 v[12:13], v46, s[12:13] scale_offset
	s_wait_loadcnt 0x0
	v_dual_add_f64 v[12:13], v[12:13], -v[48:49] :: v_dual_ashrrev_i32 v47, 31, v46
	v_fmac_f64_e32 v[14:15], v[12:13], v[64:65]
	v_add3_u32 v65, s40, s22, v44
	s_lshl_b32 s22, s31, 1
	s_delay_alu instid0(VALU_DEP_1) | instskip(SKIP_1) | instid1(SALU_CYCLE_1)
	v_mad_u32 v67, s41, s29, v65
	s_mul_i32 s29, s30, 3
	s_sub_co_i32 s22, s22, s29
	s_lshl_b32 s29, s30, 2
	s_add_co_i32 s22, s22, 2
	s_delay_alu instid0(VALU_DEP_3) | instskip(NEXT) | instid1(VALU_DEP_1)
	v_mul_f64_e32 v[12:13], 0x3fc5555555555555, v[14:15]
	v_fmac_f64_e32 v[112:113], v[60:61], v[12:13]
	v_add_nc_u64_e32 v[12:13], s[36:37], v[32:33]
	s_delay_alu instid0(VALU_DEP_1)
	v_lshl_add_u64 v[12:13], v[12:13], 3, s[12:13]
	s_clause 0x2
	global_load_b64 v[42:43], v[12:13], off offset:-16
	global_load_b128 v[12:15], v[24:25], off offset:8
	global_load_b128 v[24:27], v[24:25], off offset:-8
	s_clause 0x3
	scratch_store_b64 off, v[16:17], off offset:552
	scratch_store_b64 off, v[68:69], off offset:576
	;; [unrolled: 1-line block ×4, first 2 shown]
	s_wait_loadcnt 0x0
	s_wait_xcnt 0x4
	v_add_f64_e64 v[24:25], v[24:25], -v[26:27]
	v_add_f64_e64 v[42:43], v[42:43], -v[26:27]
	;; [unrolled: 1-line block ×3, first 2 shown]
	s_delay_alu instid0(VALU_DEP_3) | instskip(NEXT) | instid1(VALU_DEP_1)
	v_mul_f64_e32 v[24:25], v[40:41], v[24:25]
	v_fmac_f64_e32 v[24:25], v[38:39], v[42:43]
	s_delay_alu instid0(VALU_DEP_1) | instskip(SKIP_1) | instid1(VALU_DEP_1)
	v_fmac_f64_e32 v[24:25], v[20:21], v[12:13]
	v_dual_add_f64 v[12:13], v[14:15], -v[26:27] :: v_dual_add_nc_u32 v14, s4, v16
	v_ashrrev_i32_e32 v15, 31, v14
	scratch_store_b64 off, v[14:15], off offset:592 ; 8-byte Folded Spill
	global_load_b64 v[14:15], v14, s[12:13] scale_offset
	v_fmac_f64_e32 v[24:25], v[36:37], v[12:13]
	s_delay_alu instid0(VALU_DEP_1) | instskip(NEXT) | instid1(VALU_DEP_1)
	v_mul_f64_e32 v[12:13], 0x3fc5555555555555, v[24:25]
	v_fma_f64 v[48:49], v[52:53], v[12:13], 0
	v_add_nc_u32_e32 v12, s4, v68
	v_mad_u32 v68, s22, s41, v65
	s_mul_i32 s22, s31, 3
	s_delay_alu instid0(SALU_CYCLE_1) | instskip(NEXT) | instid1(VALU_DEP_2)
	s_sub_co_i32 s22, s22, s29
	v_ashrrev_i32_e32 v13, 31, v12
	s_add_co_i32 s22, s22, 3
	scratch_store_b64 off, v[12:13], off offset:600 ; 8-byte Folded Spill
	global_load_b64 v[12:13], v12, s[12:13] scale_offset
	s_wait_loadcnt 0x1
	v_add_f64_e64 v[14:15], v[14:15], -v[26:27]
	s_delay_alu instid0(VALU_DEP_1) | instskip(SKIP_3) | instid1(VALU_DEP_1)
	v_mul_f64_e32 v[10:11], v[10:11], v[14:15]
	v_add_nc_u32_e32 v14, -1, v126
	s_wait_loadcnt 0x0
	v_add_f64_e64 v[12:13], v[12:13], -v[26:27]
	v_fmac_f64_e32 v[10:11], v[8:9], v[12:13]
	v_add_nc_u32_e32 v8, s4, v18
	s_delay_alu instid0(VALU_DEP_1) | instskip(SKIP_4) | instid1(VALU_DEP_1)
	v_ashrrev_i32_e32 v9, 31, v8
	scratch_store_b64 off, v[8:9], off offset:608 ; 8-byte Folded Spill
	global_load_b64 v[8:9], v8, s[12:13] scale_offset
	s_wait_loadcnt 0x0
	v_add_f64_e64 v[8:9], v[8:9], -v[26:27]
	v_fmac_f64_e32 v[10:11], v[34:35], v[8:9]
	v_add_nc_u32_e32 v8, s4, v46
	s_delay_alu instid0(VALU_DEP_1) | instskip(SKIP_4) | instid1(VALU_DEP_1)
	v_ashrrev_i32_e32 v9, 31, v8
	scratch_store_b64 off, v[8:9], off offset:616 ; 8-byte Folded Spill
	global_load_b64 v[8:9], v8, s[12:13] scale_offset
	s_wait_loadcnt 0x0
	v_add_f64_e64 v[8:9], v[8:9], -v[26:27]
	v_fmac_f64_e32 v[10:11], v[30:31], v[8:9]
	s_delay_alu instid0(VALU_DEP_1) | instskip(NEXT) | instid1(VALU_DEP_1)
	v_mul_f64_e32 v[8:9], 0x3fc5555555555555, v[10:11]
	v_fmac_f64_e32 v[48:49], v[60:61], v[8:9]
	v_subrev_nc_u32_e32 v8, s28, v67
	s_delay_alu instid0(VALU_DEP_1) | instskip(NEXT) | instid1(VALU_DEP_1)
	v_mul_lo_u32 v8, s38, v8
	v_add3_u32 v13, v8, s38, v66
	v_subrev_nc_u32_e32 v8, s28, v68
	s_delay_alu instid0(VALU_DEP_1) | instskip(NEXT) | instid1(VALU_DEP_1)
	v_mul_lo_u32 v8, s38, v8
	v_add3_u32 v16, v8, s38, v66
	v_mad_u32 v8, s22, s41, v65
	s_mul_i32 s22, s30, s41
	s_delay_alu instid0(VALU_DEP_1) | instskip(NEXT) | instid1(VALU_DEP_1)
	v_subrev_nc_u32_e32 v8, s28, v8
	v_mul_lo_u32 v8, s38, v8
	s_delay_alu instid0(VALU_DEP_1) | instskip(SKIP_1) | instid1(VALU_DEP_1)
	v_add3_u32 v17, v8, s38, v66
	v_subrev_nc_u32_e32 v8, s22, v65
	v_subrev_nc_u32_e32 v8, s28, v8
	s_delay_alu instid0(VALU_DEP_1) | instskip(NEXT) | instid1(VALU_DEP_1)
	v_mul_lo_u32 v8, s38, v8
	v_add3_u32 v18, v8, s38, v66
.LBB0_2:                                ; =>This Loop Header: Depth=1
                                        ;     Child Loop BB0_3 Depth 2
	v_mov_b64_e32 v[8:9], 0
	v_mov_b64_e32 v[20:21], 0
	;; [unrolled: 1-line block ×6, first 2 shown]
	v_dual_add_nc_u32 v15, s33, v18 :: v_dual_add_nc_u32 v69, s33, v17
	v_dual_add_nc_u32 v72, s33, v16 :: v_dual_add_nc_u32 v73, s33, v13
	s_mov_b32 s29, 0
.LBB0_3:                                ;   Parent Loop BB0_2 Depth=1
                                        ; =>  This Inner Loop Header: Depth=2
	s_wait_xcnt 0x0
	v_add_nc_u32_e32 v12, s29, v14
	s_add_co_i32 s29, s29, 48
	s_delay_alu instid0(SALU_CYCLE_1)
	s_cmp_eq_u32 s29, 0x180
	global_load_b64 v[36:37], v12, s[8:9] scale_offset
	s_wait_xcnt 0x0
	v_add_nc_u32_e32 v12, s25, v15
	s_clause 0x1
	global_load_b64 v[38:39], v12, s[14:15] scale_offset
	global_load_b64 v[40:41], v12, s[16:17] scale_offset
	s_wait_xcnt 0x0
	v_dual_add_nc_u32 v12, s25, v73 :: v_dual_add_nc_u32 v73, s21, v73
	v_add_nc_u32_e32 v15, s21, v15
	global_load_b64 v[34:35], v12, s[18:19] scale_offset
	s_wait_xcnt 0x0
	v_dual_add_nc_u32 v12, s25, v72 :: v_dual_add_nc_u32 v72, s21, v72
	s_wait_loadcnt 0x1
	v_fma_f64 v[46:47], 2.0, v[38:39], v[40:41]
	s_wait_loadcnt 0x0
	s_delay_alu instid0(VALU_DEP_1) | instskip(NEXT) | instid1(VALU_DEP_1)
	v_mul_f64_e32 v[42:43], v[46:47], v[34:35]
	v_mul_f64_e32 v[42:43], v[0:1], v[42:43]
	s_delay_alu instid0(VALU_DEP_1)
	v_mul_f64_e32 v[74:75], v[34:35], v[42:43]
	global_load_b64 v[42:43], v12, s[18:19] scale_offset
	s_wait_xcnt 0x0
	v_dual_add_nc_u32 v12, s25, v69 :: v_dual_add_nc_u32 v69, s21, v69
	s_wait_loadcnt 0x0
	v_mul_f64_e32 v[44:45], v[4:5], v[42:43]
	s_delay_alu instid0(VALU_DEP_1) | instskip(NEXT) | instid1(VALU_DEP_1)
	v_mul_f64_e32 v[44:45], v[42:43], v[44:45]
	v_mul_f64_e32 v[78:79], v[4:5], v[44:45]
	global_load_b64 v[44:45], v12, s[18:19] scale_offset
	s_wait_loadcnt 0x0
	v_fma_f64 v[82:83], v[44:45], v[44:45], v[78:79]
	v_mul_f64_e32 v[80:81], v[44:45], v[44:45]
	s_delay_alu instid0(VALU_DEP_2) | instskip(NEXT) | instid1(VALU_DEP_1)
	v_mul_f64_e32 v[82:83], v[38:39], v[82:83]
	v_fmac_f64_e32 v[82:83], v[0:1], v[74:75]
	v_mul_f64_e32 v[74:75], v[46:47], v[42:43]
	v_mul_f64_e32 v[46:47], v[46:47], v[44:45]
	s_delay_alu instid0(VALU_DEP_3) | instskip(SKIP_1) | instid1(VALU_DEP_4)
	v_fmac_f64_e32 v[30:31], v[36:37], v[82:83]
	v_mul_f64_e32 v[82:83], v[0:1], v[34:35]
	v_mul_f64_e32 v[74:75], v[4:5], v[74:75]
	s_delay_alu instid0(VALU_DEP_2) | instskip(NEXT) | instid1(VALU_DEP_2)
	v_mul_f64_e32 v[82:83], v[34:35], v[82:83]
	v_mul_f64_e32 v[74:75], v[42:43], v[74:75]
	s_delay_alu instid0(VALU_DEP_2) | instskip(SKIP_1) | instid1(VALU_DEP_2)
	v_fmac_f64_e32 v[80:81], v[0:1], v[82:83]
	v_fmac_f64_e32 v[78:79], v[0:1], v[82:83]
	v_mul_f64_e32 v[80:81], v[38:39], v[80:81]
	s_delay_alu instid0(VALU_DEP_1) | instskip(NEXT) | instid1(VALU_DEP_3)
	v_fmac_f64_e32 v[80:81], v[4:5], v[74:75]
	v_mul_f64_e32 v[74:75], v[38:39], v[78:79]
	v_add_f64_e32 v[38:39], v[38:39], v[40:41]
	s_delay_alu instid0(VALU_DEP_3) | instskip(NEXT) | instid1(VALU_DEP_3)
	v_fmac_f64_e32 v[20:21], v[36:37], v[80:81]
	v_fmac_f64_e32 v[74:75], v[44:45], v[46:47]
	s_delay_alu instid0(VALU_DEP_1) | instskip(NEXT) | instid1(VALU_DEP_4)
	v_fmac_f64_e32 v[8:9], v[36:37], v[74:75]
	v_mul_f64_e32 v[36:37], v[36:37], v[38:39]
	s_delay_alu instid0(VALU_DEP_1) | instskip(NEXT) | instid1(VALU_DEP_1)
	v_mul_f64_e32 v[34:35], v[34:35], v[36:37]
	v_fmac_f64_e32 v[24:25], v[42:43], v[34:35]
	v_fmac_f64_e32 v[26:27], v[34:35], v[44:45]
	v_mul_f64_e32 v[34:35], v[36:37], v[42:43]
	s_delay_alu instid0(VALU_DEP_1)
	v_fmac_f64_e32 v[10:11], v[34:35], v[44:45]
	s_cbranch_scc0 .LBB0_3
; %bb.4:                                ;   in Loop: Header=BB0_2 Depth=1
	s_wait_xcnt 0x0
	v_mad_u32 v12, s39, s21, v29
	v_mul_f64_e32 v[30:31], v[84:85], v[30:31]
	v_mul_f64_e32 v[20:21], v[84:85], v[20:21]
	s_delay_alu instid0(VALU_DEP_4)
	v_mul_f64_e32 v[10:11], v[60:61], v[10:11]
	v_mul_f64_e32 v[8:9], v[84:85], v[8:9]
	s_add_co_i32 s39, s39, 1
	v_add_nc_u32_e32 v14, 6, v14
	s_cmp_eq_u32 s39, 9
	global_load_b64 v[34:35], v12, s[12:13] scale_offset
	s_wait_xcnt 0x0
	v_dual_mul_f64 v[26:27], v[52:53], v[26:27] :: v_dual_add_nc_u32 v12, s4, v12
	global_load_b64 v[36:37], v12, s[12:13] scale_offset
	s_wait_xcnt 0x0
	v_add_nc_u32_e32 v12, s4, v12
	s_wait_loadcnt 0x0
	v_mul_f64_e32 v[38:39], v[24:25], v[36:37]
	v_mul_f64_e32 v[20:21], v[20:21], v[36:37]
	s_delay_alu instid0(VALU_DEP_2) | instskip(SKIP_3) | instid1(VALU_DEP_1)
	v_fmac_f64_e32 v[38:39], v[30:31], v[34:35]
	global_load_b64 v[30:31], v12, s[12:13] scale_offset
	v_fmac_f64_e32 v[20:21], v[24:25], v[34:35]
	s_wait_loadcnt 0x0
	v_fmac_f64_e32 v[20:21], v[10:11], v[30:31]
	v_mul_f64_e32 v[10:11], v[10:11], v[36:37]
	v_fmac_f64_e32 v[38:39], v[26:27], v[30:31]
	s_delay_alu instid0(VALU_DEP_3) | instskip(NEXT) | instid1(VALU_DEP_3)
	v_add_f64_e32 v[112:113], v[112:113], v[20:21]
	v_fmac_f64_e32 v[10:11], v[26:27], v[34:35]
	s_delay_alu instid0(VALU_DEP_3) | instskip(NEXT) | instid1(VALU_DEP_2)
	v_add_f64_e32 v[22:23], v[22:23], v[38:39]
	v_fmac_f64_e32 v[10:11], v[8:9], v[30:31]
	s_delay_alu instid0(VALU_DEP_1)
	v_add_f64_e32 v[48:49], v[48:49], v[10:11]
	s_cbranch_scc0 .LBB0_2
; %bb.5:
	s_clause 0x5
	scratch_store_b32 off, v18, off offset:632
	scratch_store_b32 off, v17, off offset:628
	;; [unrolled: 1-line block ×3, first 2 shown]
	scratch_store_b64 off, v[84:85], off offset:256
	scratch_store_b64 off, v[60:61], off offset:208
	scratch_store_b64 off, v[52:53], off offset:200
	v_dual_mov_b32 v73, v16 :: v_dual_add_nc_u32 v8, s24, v55
	global_load_b64 v[16:17], v126, s[2:3] offset:-8 scale_offset
	v_add3_u32 v9, s34, s21, v28
	s_wait_xcnt 0x4
	v_dual_add_nc_u32 v12, s21, v29 :: v_dual_add_nc_u32 v13, s24, v58
	v_add_nc_u32_e32 v15, s4, v28
	v_dual_add_nc_u32 v10, s24, v56 :: v_dual_add_nc_u32 v11, s24, v57
	v_add_nc_u32_e32 v14, s4, v9
	global_load_b64 v[18:19], v9, s[18:19] scale_offset
	global_load_b64 v[24:25], v15, s[12:13] scale_offset
	v_mov_b64_e32 v[100:101], 0
	v_add_nc_u32_e32 v29, v71, v11
	v_mov_b64_e32 v[98:99], 0
	v_mov_b64_e32 v[122:123], 0
	;; [unrolled: 1-line block ×9, first 2 shown]
	s_mov_b32 s8, -1
	s_wait_xcnt 0x2
	s_mov_b32 s2, s21
	v_add_nc_u32_e32 v27, v71, v8
	s_wait_loadcnt 0x2
	scratch_store_b64 off, v[16:17], off offset:644 ; 8-byte Folded Spill
	global_load_b64 v[16:17], v12, s[14:15] scale_offset
	s_wait_loadcnt 0x2
	scratch_store_b64 off, v[18:19], off offset:700 ; 8-byte Folded Spill
	s_wait_loadcnt 0x1
	scratch_store_b64 off, v[24:25], off offset:652 ; 8-byte Folded Spill
	global_load_b64 v[18:19], v14, s[18:19] scale_offset
	s_wait_loadcnt 0x1
	scratch_store_b64 off, v[16:17], off offset:668 ; 8-byte Folded Spill
	global_load_b64 v[16:17], v12, s[16:17] scale_offset
	s_wait_xcnt 0x0
	v_dual_add_nc_u32 v12, s4, v14 :: v_dual_add_nc_u32 v14, v76, v8
	v_add_nc_u32_e32 v20, v59, v13
	s_wait_loadcnt 0x0
	scratch_store_b64 off, v[16:17], off offset:676 ; 8-byte Folded Spill
	s_wait_xcnt 0x0
	v_dual_add_nc_u32 v16, s4, v15 :: v_dual_add_nc_u32 v17, v76, v13
	s_delay_alu instid0(VALU_DEP_1)
	v_add_nc_u32_e32 v9, s4, v16
	global_load_b64 v[24:25], v16, s[12:13] scale_offset
	scratch_store_b64 off, v[18:19], off offset:692 ; 8-byte Folded Spill
	global_load_b64 v[18:19], v12, s[18:19] scale_offset
	s_wait_xcnt 0x0
	v_dual_add_nc_u32 v12, s34, v17 :: v_dual_add_nc_u32 v17, s4, v17
	s_wait_loadcnt 0x1
	scratch_store_b64 off, v[24:25], off offset:660 ; 8-byte Folded Spill
	global_load_b64 v[24:25], v9, s[12:13] scale_offset
	s_wait_xcnt 0x0
	v_add_nc_u32_e32 v9, s34, v14
	s_wait_loadcnt 0x1
	scratch_store_b64 off, v[18:19], off offset:684 ; 8-byte Folded Spill
	s_wait_xcnt 0x0
	v_dual_add_nc_u32 v18, v76, v11 :: v_dual_add_nc_u32 v19, v76, v10
	global_load_b64 v[30:31], v9, s[12:13] scale_offset
	v_add_nc_u32_e32 v16, s34, v20
	v_dual_add_nc_u32 v21, v59, v8 :: v_dual_add_nc_u32 v15, s34, v19
	v_add_nc_u32_e32 v8, v70, v8
	s_wait_loadcnt 0x1
	scratch_store_b64 off, v[24:25], off offset:636 ; 8-byte Folded Spill
	global_load_b64 v[24:25], v12, s[12:13] scale_offset
	s_wait_xcnt 0x0
	v_add_nc_u32_e32 v12, s34, v18
	s_wait_loadcnt 0x1
	scratch_store_b64 off, v[30:31], off offset:772 ; 8-byte Folded Spill
	global_load_b64 v[30:31], v12, s[12:13] scale_offset
	s_wait_loadcnt 0x0
	scratch_store_b64 off, v[30:31], off offset:764 ; 8-byte Folded Spill
	global_load_b64 v[30:31], v15, s[12:13] scale_offset
	scratch_store_b64 off, v[24:25], off offset:716 ; 8-byte Folded Spill
	s_wait_xcnt 0x0
	v_dual_add_nc_u32 v24, v59, v11 :: v_dual_add_nc_u32 v25, v59, v10
	v_dual_add_nc_u32 v26, v71, v13 :: v_dual_add_nc_u32 v11, v70, v11
	s_delay_alu instid0(VALU_DEP_2) | instskip(SKIP_1) | instid1(VALU_DEP_4)
	v_dual_add_nc_u32 v13, v70, v13 :: v_dual_add_nc_u32 v12, s34, v24
	v_add_nc_u32_e32 v9, s34, v21
	v_add_nc_u32_e32 v15, s34, v25
	s_wait_loadcnt 0x0
	scratch_store_b64 off, v[30:31], off offset:64 ; 8-byte Folded Spill
	global_load_b64 v[30:31], v16, s[12:13] scale_offset
	s_wait_xcnt 0x0
	v_add_nc_u32_e32 v16, s34, v26
	s_wait_loadcnt 0x0
	scratch_store_b64 off, v[30:31], off offset:756 ; 8-byte Folded Spill
	global_load_b64 v[30:31], v9, s[12:13] scale_offset
	s_wait_xcnt 0x0
	v_add_nc_u32_e32 v9, s34, v27
	global_load_b64 v[36:37], v9, s[12:13] scale_offset
	s_wait_xcnt 0x0
	v_dual_add_nc_u32 v9, s4, v14 :: v_dual_add_nc_u32 v14, s4, v19
	v_add_nc_u32_e32 v19, s4, v25
	s_wait_loadcnt 0x1
	scratch_store_b64 off, v[30:31], off offset:804 ; 8-byte Folded Spill
	global_load_b64 v[30:31], v12, s[12:13] scale_offset
	s_wait_xcnt 0x0
	v_add_nc_u32_e32 v12, s34, v29
	s_wait_loadcnt 0x1
	scratch_store_b64 off, v[36:37], off offset:836 ; 8-byte Folded Spill
	global_load_b64 v[36:37], v12, s[12:13] scale_offset
	s_wait_xcnt 0x0
	v_dual_add_nc_u32 v12, s4, v18 :: v_dual_add_nc_u32 v18, s4, v24
	global_load_b64 v[24:25], v9, s[12:13] scale_offset
	s_wait_loadcnt 0x2
	scratch_store_b64 off, v[30:31], off offset:72 ; 8-byte Folded Spill
	global_load_b64 v[30:31], v15, s[12:13] scale_offset
	s_wait_xcnt 0x0
	v_dual_add_nc_u32 v15, v71, v10 :: v_dual_add_nc_u32 v10, v70, v10
	v_add_nc_u32_e32 v9, s4, v27
	v_add_nc_u32_e32 v34, s34, v11
	s_wait_loadcnt 0x2
	scratch_store_b64 off, v[36:37], off offset:732 ; 8-byte Folded Spill
	v_dual_add_nc_u32 v11, s4, v11 :: v_dual_add_nc_u32 v35, s34, v10
	s_wait_loadcnt 0x1
	scratch_store_b64 off, v[24:25], off offset:120 ; 8-byte Folded Spill
	global_load_b64 v[24:25], v12, s[12:13] scale_offset
	s_wait_xcnt 0x0
	v_dual_add_nc_u32 v12, s4, v29 :: v_dual_add_nc_u32 v10, s4, v10
	v_ashrrev_i32_e32 v29, 31, v28
	s_wait_loadcnt 0x1
	scratch_store_b64 off, v[30:31], off offset:80 ; 8-byte Folded Spill
	global_load_b64 v[30:31], v16, s[12:13] scale_offset
	s_wait_xcnt 0x0
	v_add_nc_u32_e32 v16, s34, v15
	s_wait_loadcnt 0x1
	scratch_store_b64 off, v[24:25], off offset:96 ; 8-byte Folded Spill
	global_load_b64 v[24:25], v14, s[12:13] scale_offset
	s_wait_xcnt 0x0
	v_add_nc_u32_e32 v14, s4, v15
	s_wait_loadcnt 0x1
	scratch_store_b64 off, v[30:31], off offset:796 ; 8-byte Folded Spill
	s_wait_xcnt 0x0
	v_add_nc_u32_e32 v30, s34, v13
	s_clause 0x1
	global_load_b64 v[36:37], v16, s[12:13] scale_offset
	global_load_b64 v[16:17], v17, s[12:13] scale_offset
	v_dual_add_nc_u32 v31, s34, v8 :: v_dual_add_nc_u32 v8, s4, v8
	v_add_nc_u32_e32 v13, s4, v13
	global_load_b64 v[14:15], v14, s[12:13] scale_offset
	s_wait_loadcnt 0x3
	scratch_store_b64 off, v[24:25], off offset:136 ; 8-byte Folded Spill
	s_wait_loadcnt 0x1
	scratch_store_b64 off, v[16:17], off offset:88 ; 8-byte Folded Spill
	s_wait_xcnt 0x0
	v_dual_add_nc_u32 v16, s4, v20 :: v_dual_add_nc_u32 v17, s4, v21
	v_add_nc_u32_e32 v20, s4, v26
	s_clause 0x1
	global_load_b64 v[24:25], v16, s[12:13] scale_offset
	global_load_b64 v[16:17], v17, s[12:13] scale_offset
	s_wait_loadcnt 0x0
	scratch_store_b64 off, v[16:17], off offset:780 ; 8-byte Folded Spill
	global_load_b64 v[16:17], v18, s[12:13] scale_offset
	scratch_store_b64 off, v[24:25], off offset:128 ; 8-byte Folded Spill
	s_wait_loadcnt 0x0
	scratch_store_b64 off, v[16:17], off offset:104 ; 8-byte Folded Spill
	global_load_b64 v[16:17], v19, s[12:13] scale_offset
	scratch_store_b64 off, v[36:37], off offset:724 ; 8-byte Folded Spill
	global_load_b64 v[36:37], v30, s[12:13] scale_offset
	s_wait_loadcnt 0x1
	scratch_store_b64 off, v[16:17], off offset:112 ; 8-byte Folded Spill
	global_load_b64 v[16:17], v20, s[12:13] scale_offset
	s_wait_xcnt 0x0
	v_mov_b64_e32 v[20:21], 0
	s_wait_loadcnt 0x0
	scratch_store_b64 off, v[16:17], off offset:788 ; 8-byte Folded Spill
	s_clause 0x1
	global_load_b64 v[16:17], v9, s[12:13] scale_offset
	global_load_b64 v[8:9], v8, s[12:13] scale_offset
	s_wait_loadcnt 0x1
	scratch_store_b64 off, v[16:17], off offset:812 ; 8-byte Folded Spill
	global_load_b64 v[16:17], v12, s[12:13] scale_offset
	s_wait_loadcnt 0x1
	scratch_store_b64 off, v[8:9], off offset:820 ; 8-byte Folded Spill
	s_clause 0x2
	global_load_b64 v[8:9], v11, s[12:13] scale_offset
	global_load_b64 v[30:31], v31, s[12:13] scale_offset
	;; [unrolled: 1-line block ×3, first 2 shown]
	s_wait_loadcnt 0x2
	scratch_store_b64 off, v[8:9], off offset:160 ; 8-byte Folded Spill
	s_wait_loadcnt 0x1
	scratch_store_b64 off, v[30:31], off offset:852 ; 8-byte Folded Spill
	s_clause 0x1
	global_load_b64 v[30:31], v34, s[12:13] scale_offset
	global_load_b64 v[8:9], v10, s[12:13] scale_offset
	s_clause 0x1
	scratch_store_b64 off, v[16:17], off offset:144
	scratch_store_b64 off, v[14:15], off offset:184
	s_wait_loadcnt 0x2
	scratch_store_b64 off, v[12:13], off offset:828 ; 8-byte Folded Spill
	s_wait_loadcnt 0x1
	scratch_store_b64 off, v[30:31], off offset:748 ; 8-byte Folded Spill
	global_load_b64 v[30:31], v35, s[12:13] scale_offset
	scratch_store_b64 off, v[36:37], off offset:844 ; 8-byte Folded Spill
	s_wait_loadcnt 0x1
	scratch_store_b64 off, v[8:9], off offset:152 ; 8-byte Folded Spill
	s_wait_xcnt 0x0
	v_mov_b64_e32 v[8:9], 0
	s_wait_loadcnt 0x0
	scratch_store_b64 off, v[30:31], off offset:740 ; 8-byte Folded Spill
.LBB0_6:                                ; =>This Inner Loop Header: Depth=1
	s_ashr_i32 s3, s2, 31
	s_wait_xcnt 0x6
	v_add_nc_u32_e32 v10, s8, v126
	s_wait_xcnt 0x0
	v_add_nc_u64_e32 v[30:31], s[2:3], v[28:29]
	s_add_co_i32 s8, s8, 6
	s_add_co_i32 s2, s2, s21
	s_cmp_eq_u32 s8, 47
	global_load_b64 v[10:11], v10, s[10:11] scale_offset
	v_add_nc_u64_e32 v[24:25], s[4:5], v[30:31]
	s_delay_alu instid0(VALU_DEP_1)
	v_lshl_add_u64 v[42:43], v[24:25], 3, s[12:13]
	global_load_b128 v[24:27], v[42:43], off offset:-16
	s_wait_loadcnt 0x0
	v_fmac_f64_e32 v[108:109], v[10:11], v[24:25]
	v_add_nc_u64_e32 v[24:25], s[34:35], v[30:31]
	v_fmac_f64_e32 v[118:119], v[10:11], v[26:27]
	s_delay_alu instid0(VALU_DEP_2)
	v_lshl_add_u64 v[44:45], v[24:25], 3, s[12:13]
	v_add_nc_u64_e32 v[24:25], s[36:37], v[30:31]
	global_load_b128 v[34:37], v[44:45], off offset:-16
	v_lshl_add_u64 v[30:31], v[24:25], 3, s[12:13]
	s_clause 0x1
	global_load_b128 v[24:27], v[42:43], off offset:8
	global_load_b128 v[38:41], v[30:31], off offset:-16
	s_wait_loadcnt 0x2
	v_fmac_f64_e32 v[8:9], v[10:11], v[34:35]
	v_fmac_f64_e32 v[92:93], v[10:11], v[36:37]
	global_load_b128 v[34:37], v[44:45], off offset:8
	s_wait_loadcnt 0x2
	v_fmac_f64_e32 v[106:107], v[10:11], v[26:27]
	v_fmac_f64_e32 v[20:21], v[10:11], v[24:25]
	s_wait_loadcnt 0x1
	v_fmac_f64_e32 v[86:87], v[10:11], v[38:39]
	v_fmac_f64_e32 v[122:123], v[10:11], v[40:41]
	s_wait_loadcnt 0x0
	v_fmac_f64_e32 v[120:121], v[10:11], v[36:37]
	global_load_b128 v[36:39], v[30:31], off offset:8
	v_fmac_f64_e32 v[56:57], v[10:11], v[34:35]
	s_wait_loadcnt 0x0
	v_fmac_f64_e32 v[100:101], v[10:11], v[38:39]
	v_fmac_f64_e32 v[98:99], v[10:11], v[36:37]
	s_cbranch_scc0 .LBB0_6
; %bb.7:
	s_lshl_b32 s2, s4, 2
	s_wait_xcnt 0x6
	v_lshl_add_u64 v[10:11], v[88:89], 3, s[18:19]
	s_ashr_i32 s3, s2, 31
	v_lshl_add_u64 v[24:25], v[62:63], 3, s[18:19]
	v_add_nc_u64_e32 v[26:27], s[2:3], v[32:33]
	s_clause 0x1
	scratch_store_b64 off, v[22:23], off offset:392
	scratch_store_b64 off, v[62:63], off offset:372
	s_mul_i32 s4, s27, 3
	s_lshl_b32 s5, s26, 2
	s_not_b32 s8, s28
	s_add_co_i32 s23, s23, s20
	v_lshl_add_u64 v[26:27], v[26:27], 3, s[18:19]
	v_mov_b64_e32 v[114:115], 0
	v_mov_b64_e32 v[116:117], 0
	;; [unrolled: 1-line block ×4, first 2 shown]
	global_load_b128 v[12:15], v[26:27], off offset:8
	scratch_store_b64 off, v[88:89], off offset:280 ; 8-byte Folded Spill
	s_clause 0x1
	global_load_b128 v[88:91], v[10:11], off offset:8
	global_load_b128 v[60:63], v[24:25], off offset:8
	v_mov_b64_e32 v[110:111], 0
	v_mov_b64_e32 v[102:103], 0
	;; [unrolled: 1-line block ×7, first 2 shown]
	s_mov_b32 s3, -1
	s_wait_loadcnt 0x2
	scratch_store_b128 off, v[12:15], off offset:168 ; 16-byte Folded Spill
	s_clause 0x2
	global_load_b128 v[36:39], v[10:11], off offset:-16
	global_load_b128 v[44:47], v[24:25], off offset:-16
	;; [unrolled: 1-line block ×3, first 2 shown]
	s_wait_xcnt 0x2
	v_xad_u32 v10, s22, -1, v65
	s_delay_alu instid0(VALU_DEP_1) | instskip(NEXT) | instid1(VALU_DEP_1)
	v_subrev_nc_u32_e32 v10, s28, v10
	v_mul_lo_u32 v10, v10, s38
	s_delay_alu instid0(VALU_DEP_1) | instskip(NEXT) | instid1(VALU_DEP_1)
	v_add_nc_u32_e32 v11, v66, v10
	v_add_nc_u32_e32 v12, s4, v11
	s_delay_alu instid0(VALU_DEP_1) | instskip(NEXT) | instid1(VALU_DEP_1)
	v_subrev_nc_u32_e32 v12, s5, v12
	v_dual_add_nc_u32 v72, 3, v12 :: v_dual_add_nc_u32 v12, s8, v67
	s_delay_alu instid0(VALU_DEP_1) | instskip(NEXT) | instid1(VALU_DEP_2)
	v_mov_b32_e32 v65, v72
	v_mul_lo_u32 v12, v12, s38
	s_delay_alu instid0(VALU_DEP_1) | instskip(NEXT) | instid1(VALU_DEP_1)
	v_add_nc_u32_e32 v13, v66, v12
	v_add_nc_u32_e32 v14, s4, v13
	s_delay_alu instid0(VALU_DEP_1) | instskip(SKIP_1) | instid1(VALU_DEP_1)
	v_subrev_nc_u32_e32 v14, s5, v14
	s_wait_xcnt 0x0
	v_dual_add_nc_u32 v26, 3, v14 :: v_dual_add_nc_u32 v14, s8, v68
	v_subrev_nc_u32_e32 v68, s26, v11
	s_delay_alu instid0(VALU_DEP_2) | instskip(NEXT) | instid1(VALU_DEP_3)
	v_mov_b32_e32 v97, v26
	v_mul_lo_u32 v14, v14, s38
	s_delay_alu instid0(VALU_DEP_1) | instskip(SKIP_1) | instid1(VALU_DEP_2)
	v_dual_mov_b32 v28, v68 :: v_dual_add_nc_u32 v15, v66, v14
	v_subrev_nc_u32_e32 v69, s26, v13
	v_add_nc_u32_e32 v16, s4, v15
	s_lshl_b32 s4, s27, 2
	v_subrev_nc_u32_e32 v70, s26, v15
	s_delay_alu instid0(VALU_DEP_3) | instskip(NEXT) | instid1(VALU_DEP_3)
	v_mov_b32_e32 v25, v69
	v_subrev_nc_u32_e32 v16, s5, v16
	s_mul_i32 s5, s26, 5
	s_delay_alu instid0(VALU_DEP_1) | instskip(NEXT) | instid1(VALU_DEP_1)
	v_dual_mov_b32 v24, v70 :: v_dual_add_nc_u32 v27, 3, v16
	v_dual_add_nc_u32 v16, s4, v11 :: v_dual_mov_b32 v96, v27
	s_delay_alu instid0(VALU_DEP_1) | instskip(NEXT) | instid1(VALU_DEP_1)
	v_subrev_nc_u32_e32 v16, s5, v16
	v_dual_add_nc_u32 v34, 4, v16 :: v_dual_add_nc_u32 v16, s4, v13
	s_delay_alu instid0(VALU_DEP_1) | instskip(NEXT) | instid1(VALU_DEP_2)
	v_mov_b32_e32 v85, v34
	v_subrev_nc_u32_e32 v16, s5, v16
	s_delay_alu instid0(VALU_DEP_1) | instskip(SKIP_1) | instid1(VALU_DEP_1)
	v_dual_add_nc_u32 v35, 4, v16 :: v_dual_add_nc_u32 v16, s4, v15
	s_lshl_b32 s4, s26, 1
	v_mov_b32_e32 v84, v35
	s_delay_alu instid0(VALU_DEP_2) | instskip(NEXT) | instid1(VALU_DEP_1)
	v_subrev_nc_u32_e32 v16, s5, v16
	v_add_nc_u32_e32 v30, 4, v16
	v_add3_u32 v16, s23, s27, v54
	v_mov_b64_e32 v[54:55], 0
	s_delay_alu instid0(VALU_DEP_2) | instskip(NEXT) | instid1(VALU_DEP_1)
	v_dual_mov_b32 v71, v30 :: v_dual_add_nc_u32 v10, v16, v10
	v_subrev_nc_u32_e32 v10, s4, v10
	s_delay_alu instid0(VALU_DEP_1) | instskip(NEXT) | instid1(VALU_DEP_1)
	v_dual_add_nc_u32 v31, 1, v10 :: v_dual_add_nc_u32 v10, v16, v12
	v_mov_b32_e32 v67, v31
	s_delay_alu instid0(VALU_DEP_2) | instskip(NEXT) | instid1(VALU_DEP_1)
	v_subrev_nc_u32_e32 v10, s4, v10
	v_add_nc_u32_e32 v32, 1, v10
	v_add_nc_u32_e32 v10, v16, v14
	s_delay_alu instid0(VALU_DEP_1) | instskip(NEXT) | instid1(VALU_DEP_1)
	v_subrev_nc_u32_e32 v10, s4, v10
	v_dual_mov_b32 v66, v32 :: v_dual_add_nc_u32 v33, 1, v10
	s_delay_alu instid0(VALU_DEP_1)
	v_mov_b32_e32 v29, v33
.LBB0_8:                                ; =>This Inner Loop Header: Depth=1
	s_wait_xcnt 0x0
	v_dual_add_nc_u32 v10, s3, v126 :: v_dual_add_nc_u32 v12, s33, v28
	s_add_co_i32 s3, s3, 6
	v_add_nc_u32_e32 v28, s21, v28
	s_cmp_eq_u32 s3, 47
	global_load_b64 v[10:11], v10, s[10:11] scale_offset
	global_load_b64 v[12:13], v12, s[12:13] scale_offset
	s_wait_loadcnt 0x0
	v_fmac_f64_e32 v[54:55], v[10:11], v[12:13]
	s_wait_xcnt 0x0
	v_dual_add_nc_u32 v12, s33, v25 :: v_dual_add_nc_u32 v25, s21, v25
	global_load_b64 v[12:13], v12, s[12:13] scale_offset
	s_wait_loadcnt 0x0
	v_fmac_f64_e32 v[82:83], v[10:11], v[12:13]
	s_wait_xcnt 0x0
	v_dual_add_nc_u32 v12, s33, v24 :: v_dual_add_nc_u32 v24, s21, v24
	global_load_b64 v[12:13], v12, s[12:13] scale_offset
	s_wait_loadcnt 0x0
	v_fmac_f64_e32 v[58:59], v[10:11], v[12:13]
	s_wait_xcnt 0x0
	v_dual_add_nc_u32 v12, s33, v67 :: v_dual_add_nc_u32 v67, s21, v67
	global_load_b64 v[12:13], v12, s[12:13] scale_offset
	s_wait_loadcnt 0x0
	v_fmac_f64_e32 v[80:81], v[10:11], v[12:13]
	s_wait_xcnt 0x0
	v_dual_add_nc_u32 v12, s33, v66 :: v_dual_add_nc_u32 v66, s21, v66
	global_load_b64 v[12:13], v12, s[12:13] scale_offset
	s_wait_loadcnt 0x0
	v_fmac_f64_e32 v[124:125], v[10:11], v[12:13]
	s_wait_xcnt 0x0
	v_dual_add_nc_u32 v12, s33, v29 :: v_dual_add_nc_u32 v29, s21, v29
	global_load_b64 v[12:13], v12, s[12:13] scale_offset
	s_wait_loadcnt 0x0
	v_fmac_f64_e32 v[104:105], v[10:11], v[12:13]
	s_wait_xcnt 0x0
	v_dual_add_nc_u32 v12, s33, v85 :: v_dual_add_nc_u32 v85, s21, v85
	global_load_b64 v[12:13], v12, s[12:13] scale_offset
	s_wait_loadcnt 0x0
	v_fmac_f64_e32 v[94:95], v[10:11], v[12:13]
	s_wait_xcnt 0x0
	v_dual_add_nc_u32 v12, s33, v84 :: v_dual_add_nc_u32 v84, s21, v84
	global_load_b64 v[12:13], v12, s[12:13] scale_offset
	s_wait_loadcnt 0x0
	v_fmac_f64_e32 v[110:111], v[10:11], v[12:13]
	s_wait_xcnt 0x0
	v_dual_add_nc_u32 v12, s33, v71 :: v_dual_add_nc_u32 v71, s21, v71
	global_load_b64 v[12:13], v12, s[12:13] scale_offset
	s_wait_loadcnt 0x0
	v_fmac_f64_e32 v[114:115], v[10:11], v[12:13]
	s_wait_xcnt 0x0
	v_dual_add_nc_u32 v12, s33, v65 :: v_dual_add_nc_u32 v65, s21, v65
	global_load_b64 v[12:13], v12, s[12:13] scale_offset
	s_wait_loadcnt 0x0
	v_fmac_f64_e32 v[76:77], v[10:11], v[12:13]
	s_wait_xcnt 0x0
	v_dual_add_nc_u32 v12, s33, v97 :: v_dual_add_nc_u32 v97, s21, v97
	global_load_b64 v[12:13], v12, s[12:13] scale_offset
	s_wait_loadcnt 0x0
	v_fmac_f64_e32 v[102:103], v[10:11], v[12:13]
	s_wait_xcnt 0x0
	v_dual_add_nc_u32 v12, s33, v96 :: v_dual_add_nc_u32 v96, s21, v96
	global_load_b64 v[12:13], v12, s[12:13] scale_offset
	s_wait_loadcnt 0x0
	v_fmac_f64_e32 v[116:117], v[10:11], v[12:13]
	s_cbranch_scc0 .LBB0_8
; %bb.9:
	s_clause 0x6
	scratch_load_b64 v[12:13], off, off offset:448 th:TH_LOAD_LU
	scratch_load_b64 v[22:23], off, off offset:708 th:TH_LOAD_LU
	;; [unrolled: 1-line block ×3, first 2 shown]
	scratch_load_b128 v[14:17], off, off offset:168
	scratch_load_b64 v[10:11], off, off offset:456 th:TH_LOAD_LU
	scratch_store_b128 off, v[60:63], off offset:964
	scratch_load_b128 v[62:65], off, off offset:304 th:TH_LOAD_LU
	s_mov_b64 s[4:5], 0x3fe5555555555555
	s_wait_loadcnt 0x5
	v_dual_mul_f64 v[28:29], v[12:13], v[60:61] :: v_dual_mov_b32 v71, v126
	v_mul_f64_e32 v[74:75], v[12:13], v[88:89]
	s_wait_loadcnt 0x3
	v_mul_f64_e32 v[24:25], v[18:19], v[60:61]
	s_wait_loadcnt 0x2
	v_mul_f64_e32 v[12:13], v[12:13], v[14:15]
	v_mul_f64_e32 v[66:67], v[18:19], v[14:15]
	scratch_load_b128 v[14:17], off, off offset:424 th:TH_LOAD_LU ; 16-byte Folded Reload
	s_wait_loadcnt 0x2
	v_mul_f64_e32 v[10:11], v[10:11], v[88:89]
	s_wait_loadcnt 0x0
	v_mov_b64_e32 v[14:15], v[16:17]
	scratch_load_b64 v[16:17], off, off offset:336 th:TH_LOAD_LU ; 8-byte Folded Reload
	v_mul_f64_e32 v[10:11], v[14:15], v[10:11]
	scratch_store_b64 off, v[10:11], off offset:876 ; 8-byte Folded Spill
	s_wait_xcnt 0x0
	v_mul_f64_e32 v[10:11], v[14:15], v[24:25]
	s_clause 0x1
	scratch_load_b64 v[24:25], off, off offset:328 th:TH_LOAD_LU
	scratch_store_b64 off, v[10:11], off offset:884
	s_wait_xcnt 0x0
	v_mul_f64_e32 v[10:11], v[14:15], v[66:67]
	scratch_store_b64 off, v[10:11], off offset:456 ; 8-byte Folded Spill
	s_wait_xcnt 0x0
	v_mul_f64_e32 v[10:11], v[14:15], v[28:29]
	scratch_store_b128 off, v[88:91], off offset:892 ; 16-byte Folded Spill
	s_wait_xcnt 0x0
	v_mul_f64_e32 v[88:89], v[18:19], v[14:15]
	s_clause 0x1
	scratch_load_b64 v[18:19], off, off offset:860 th:TH_LOAD_LU
	scratch_store_b64 off, v[10:11], off offset:440
	s_wait_xcnt 0x0
	v_mul_f64_e32 v[10:11], v[14:15], v[74:75]
	scratch_store_b64 off, v[10:11], off offset:868 ; 8-byte Folded Spill
	s_wait_xcnt 0x0
	v_mul_f64_e32 v[10:11], v[14:15], v[12:13]
	scratch_store_b64 off, v[10:11], off offset:448 ; 8-byte Folded Spill
	;; [unrolled: 3-line block ×3, first 2 shown]
	s_wait_xcnt 0x0
	v_mul_f64_e32 v[10:11], v[22:23], v[44:45]
	s_delay_alu instid0(VALU_DEP_1)
	v_mul_f64_e32 v[10:11], v[62:63], v[10:11]
	scratch_store_b64 off, v[10:11], off offset:956 ; 8-byte Folded Spill
	s_wait_loadcnt 0x0
	v_fma_f64 v[12:13], 2.0, v[18:19], v[22:23]
	v_mul_f64_e32 v[44:45], v[18:19], v[44:45]
	v_mul_f64_e32 v[90:91], v[18:19], v[40:41]
	s_delay_alu instid0(VALU_DEP_3)
	v_mul_f64_e32 v[14:15], v[12:13], v[36:37]
	scratch_load_b64 v[12:13], off, off offset:344 th:TH_LOAD_LU ; 8-byte Folded Reload
	v_mul_f64_e32 v[36:37], v[18:19], v[36:37]
	v_mul_f64_e32 v[18:19], v[22:23], v[40:41]
	;; [unrolled: 1-line block ×8, first 2 shown]
	s_wait_xcnt 0x1
	v_mul_f64_e32 v[10:11], v[62:63], v[18:19]
	scratch_store_b64 off, v[10:11], off offset:940 ; 8-byte Folded Spill
	s_wait_xcnt 0x0
	v_mul_f64_e32 v[10:11], v[64:65], v[88:89]
	scratch_store_b64 off, v[10:11], off offset:948 ; 8-byte Folded Spill
	s_wait_xcnt 0x0
	v_mul_f64_e32 v[10:11], v[64:65], v[40:41]
	scratch_store_b64 off, v[10:11], off offset:932 ; 8-byte Folded Spill
	s_wait_xcnt 0x0
	v_mul_f64_e32 v[10:11], v[62:63], v[44:45]
	scratch_store_b64 off, v[10:11], off offset:908 ; 8-byte Folded Spill
	s_wait_xcnt 0x0
	v_mul_f64_e32 v[10:11], v[64:65], v[46:47]
	scratch_store_b64 off, v[10:11], off offset:860 ; 8-byte Folded Spill
	s_wait_xcnt 0x0
	v_mul_f64_e32 v[10:11], v[64:65], v[60:61]
	scratch_store_b64 off, v[10:11], off offset:708 ; 8-byte Folded Spill
	s_wait_xcnt 0x0
	v_mul_f64_e32 v[10:11], v[108:109], v[90:91]
	s_wait_loadcnt 0x0
	v_mul_f64_e32 v[78:79], v[12:13], v[38:39]
	v_mul_f64_e32 v[38:39], v[16:17], v[38:39]
	;; [unrolled: 1-line block ×9, first 2 shown]
	scratch_load_b128 v[60:63], off, off offset:264 th:TH_LOAD_LU ; 16-byte Folded Reload
	v_mul_f64_e32 v[44:45], v[86:87], v[12:13]
	v_mul_f64_e32 v[12:13], v[8:9], v[12:13]
	s_wait_loadcnt 0x0
	s_delay_alu instid0(VALU_DEP_2)
	v_fmac_f64_e32 v[10:11], v[60:61], v[44:45]
	v_mul_f64_e32 v[44:45], v[122:123], v[38:39]
	v_mul_f64_e32 v[38:39], v[92:93], v[38:39]
	scratch_store_b64 off, v[10:11], off offset:328 ; 8-byte Folded Spill
	s_wait_xcnt 0x0
	v_mul_f64_e32 v[10:11], v[118:119], v[16:17]
	s_delay_alu instid0(VALU_DEP_1)
	v_fmac_f64_e32 v[10:11], v[62:63], v[44:45]
	scratch_store_b64 off, v[10:11], off offset:304 ; 8-byte Folded Spill
	s_wait_xcnt 0x0
	v_mul_f64_e32 v[10:11], v[60:61], v[14:15]
	scratch_store_b64 off, v[10:11], off offset:988 ; 8-byte Folded Spill
	s_wait_xcnt 0x0
	v_mul_f64_e32 v[10:11], v[62:63], v[78:79]
	;; [unrolled: 3-line block ×4, first 2 shown]
	s_clause 0x4
	scratch_store_b64 off, v[10:11], off offset:916
	scratch_load_b64 v[52:53], off, off offset:756 th:TH_LOAD_LU
	scratch_load_b64 v[22:23], off, off offset:804 th:TH_LOAD_LU
	scratch_load_b64 v[10:11], off, off offset:72
	scratch_load_b64 v[12:13], off, off offset:80
	s_wait_loadcnt 0x2
	v_add_f64_e64 v[16:17], v[52:53], -v[22:23]
	s_wait_loadcnt 0x0
	v_add_f64_e64 v[38:39], v[10:11], -v[12:13]
	s_clause 0x3
	scratch_load_b64 v[62:63], off, off offset:716 th:TH_LOAD_LU
	scratch_load_b64 v[12:13], off, off offset:772 th:TH_LOAD_LU
	;; [unrolled: 1-line block ×3, first 2 shown]
	scratch_load_b64 v[10:11], off, off offset:64
	v_mul_f64_e32 v[16:17], 0x3fb5555555555555, v[16:17]
	s_delay_alu instid0(VALU_DEP_1)
	v_fma_f64 v[16:17], v[38:39], s[4:5], -v[16:17]
	s_wait_loadcnt 0x3
	v_add_f64_e64 v[52:53], v[62:63], -v[52:53]
	s_wait_loadcnt 0x2
	v_add_f64_e64 v[38:39], v[62:63], -v[12:13]
	;; [unrolled: 2-line block ×3, first 2 shown]
	scratch_load_b64 v[10:11], off, off offset:480 th:TH_LOAD_LU ; 8-byte Folded Reload
	v_mul_f64_e32 v[52:53], 0x3fb5555555555555, v[52:53]
	v_mul_f64_e32 v[38:39], 0x3fb5555555555555, v[38:39]
	s_delay_alu instid0(VALU_DEP_1)
	v_fma_f64 v[38:39], v[44:45], s[4:5], -v[38:39]
	s_wait_loadcnt 0x0
	v_mul_f64_e32 v[16:17], v[10:11], v[16:17]
	scratch_load_b64 v[10:11], off, off offset:520 th:TH_LOAD_LU ; 8-byte Folded Reload
	s_wait_loadcnt 0x0
	v_fma_f64 v[10:11], v[10:11], v[38:39], -v[16:17]
	s_clause 0x9
	scratch_store_b64 off, v[10:11], off offset:336
	scratch_load_b64 v[24:25], off, off offset:844 th:TH_LOAD_LU
	scratch_load_b64 v[28:29], off, off offset:852 th:TH_LOAD_LU
	;; [unrolled: 1-line block ×9, first 2 shown]
	s_wait_loadcnt 0x7
	v_add_f64_e64 v[16:17], v[24:25], -v[28:29]
	s_wait_loadcnt 0x5
	v_add_f64_e64 v[44:45], v[88:89], -v[96:97]
	;; [unrolled: 2-line block ×4, first 2 shown]
	v_add_f64_e64 v[40:41], v[40:41], -v[88:89]
	v_mul_f64_e32 v[16:17], 0x3fb5555555555555, v[16:17]
	s_delay_alu instid0(VALU_DEP_1) | instskip(SKIP_2) | instid1(VALU_DEP_2)
	v_fma_f64 v[16:17], v[44:45], s[4:5], -v[16:17]
	v_add_f64_e64 v[44:45], v[50:51], -v[18:19]
	s_wait_loadcnt 0x0
	v_mul_f64_e32 v[16:17], v[10:11], v[16:17]
	scratch_load_b64 v[10:11], off, off offset:512 th:TH_LOAD_LU ; 8-byte Folded Reload
	v_mul_f64_e32 v[44:45], 0x3fb5555555555555, v[44:45]
	s_delay_alu instid0(VALU_DEP_1) | instskip(SKIP_1) | instid1(VALU_DEP_1)
	v_fma_f64 v[44:45], v[46:47], s[4:5], -v[44:45]
	s_wait_loadcnt 0x0
	v_fma_f64 v[10:11], v[10:11], v[44:45], -v[16:17]
	s_clause 0x2
	scratch_store_b64 off, v[10:11], off offset:344
	scratch_load_b64 v[10:11], off, off offset:88
	scratch_load_b64 v[14:15], off, off offset:120
	s_wait_loadcnt 0x0
	v_add_f64_e64 v[44:45], v[10:11], -v[14:15]
	s_clause 0x1
	scratch_load_b64 v[10:11], off, off offset:96
	scratch_load_b64 v[14:15], off, off offset:136
	v_mul_f64_e32 v[44:45], 0x3fb5555555555555, v[44:45]
	s_wait_loadcnt 0x0
	v_add_f64_e64 v[46:47], v[10:11], -v[14:15]
	s_clause 0x1
	scratch_load_b64 v[90:91], off, off offset:780 th:TH_LOAD_LU
	scratch_load_b64 v[10:11], off, off offset:128
	v_fma_f64 v[44:45], v[46:47], s[4:5], -v[44:45]
	s_wait_loadcnt 0x0
	v_add_f64_e64 v[46:47], v[10:11], -v[90:91]
	s_clause 0x1
	scratch_load_b64 v[10:11], off, off offset:104
	scratch_load_b64 v[14:15], off, off offset:112
	v_mul_f64_e32 v[46:47], 0x3fb5555555555555, v[46:47]
	s_wait_loadcnt 0x0
	v_add_f64_e64 v[74:75], v[10:11], -v[14:15]
	s_clause 0x1
	scratch_load_b64 v[10:11], off, off
	scratch_load_b64 v[16:17], off, off offset:48
	v_fma_f64 v[46:47], v[74:75], s[4:5], -v[46:47]
	s_wait_loadcnt 0x0
	v_mul_f64_e32 v[74:75], v[10:11], v[16:17]
	s_delay_alu instid0(VALU_DEP_1)
	v_mul_f64_e32 v[74:75], v[10:11], v[74:75]
	s_clause 0x1
	scratch_load_b64 v[10:11], off, off offset:24
	scratch_load_b64 v[16:17], off, off offset:56
	v_mul_f64_e32 v[46:47], v[74:75], v[46:47]
	s_wait_loadcnt 0x0
	v_mul_f64_e32 v[74:75], v[10:11], v[16:17]
	s_delay_alu instid0(VALU_DEP_1) | instskip(NEXT) | instid1(VALU_DEP_1)
	v_mul_f64_e32 v[74:75], v[10:11], v[74:75]
	v_fma_f64 v[10:11], v[74:75], v[44:45], -v[46:47]
	s_clause 0x6
	scratch_store_b64 off, v[10:11], off offset:480
	scratch_load_b64 v[60:61], off, off offset:788 th:TH_LOAD_LU
	scratch_load_b64 v[66:67], off, off offset:812 th:TH_LOAD_LU
	scratch_load_b64 v[10:11], off, off offset:184
	scratch_load_b64 v[14:15], off, off offset:144
	scratch_load_b64 v[44:45], off, off offset:820 th:TH_LOAD_LU
	scratch_load_b64 v[38:39], off, off offset:828 th:TH_LOAD_LU
	s_wait_loadcnt 0x4
	v_add_f64_e64 v[46:47], v[60:61], -v[66:67]
	s_wait_loadcnt 0x2
	v_add_f64_e64 v[74:75], v[14:15], -v[10:11]
	s_clause 0x1
	scratch_load_b64 v[10:11], off, off offset:152
	scratch_load_b64 v[14:15], off, off offset:160
	v_mul_f64_e32 v[46:47], 0x3fb5555555555555, v[46:47]
	s_delay_alu instid0(VALU_DEP_1) | instskip(SKIP_2) | instid1(VALU_DEP_1)
	v_fma_f64 v[46:47], v[74:75], s[4:5], -v[46:47]
	s_wait_loadcnt 0x2
	v_add_f64_e64 v[74:75], v[38:39], -v[44:45]
	v_mul_f64_e32 v[74:75], 0x3fb5555555555555, v[74:75]
	s_wait_loadcnt 0x0
	v_add_f64_e64 v[84:85], v[14:15], -v[10:11]
	s_clause 0x1
	scratch_load_b64 v[10:11], off, off offset:8
	scratch_load_b64 v[16:17], off, off offset:32
	v_fma_f64 v[74:75], v[84:85], s[4:5], -v[74:75]
	s_wait_loadcnt 0x0
	v_mul_f64_e32 v[84:85], v[10:11], v[16:17]
	s_delay_alu instid0(VALU_DEP_1)
	v_mul_f64_e32 v[84:85], v[10:11], v[84:85]
	s_clause 0x1
	scratch_load_b64 v[10:11], off, off offset:16
	scratch_load_b64 v[16:17], off, off offset:40
	v_mul_f64_e32 v[74:75], v[84:85], v[74:75]
	s_wait_loadcnt 0x0
	v_mul_f64_e32 v[84:85], v[10:11], v[16:17]
	s_delay_alu instid0(VALU_DEP_1) | instskip(NEXT) | instid1(VALU_DEP_1)
	v_mul_f64_e32 v[84:85], v[10:11], v[84:85]
	v_fma_f64 v[46:47], v[84:85], v[46:47], -v[74:75]
	v_add_f64_e64 v[74:75], v[12:13], -v[22:23]
	s_clause 0x1
	scratch_load_b64 v[22:23], off, off offset:384 th:TH_LOAD_LU
	scratch_load_b128 v[10:13], off, off offset:964 th:TH_LOAD_LU
	s_wait_loadcnt 0x0
	scratch_load_b64 v[10:11], off, off offset:400 th:TH_LOAD_LU ; 8-byte Folded Reload
	v_mul_f64_e32 v[74:75], 0x3fb5555555555555, v[74:75]
	s_delay_alu instid0(VALU_DEP_1) | instskip(NEXT) | instid1(VALU_DEP_1)
	v_fma_f64 v[62:63], v[62:63], s[4:5], -v[74:75]
	v_mul_f64_e32 v[42:43], v[42:43], v[62:63]
	v_mul_f64_e32 v[84:85], v[22:23], v[12:13]
	s_wait_loadcnt 0x0
	v_mul_f64_e32 v[64:65], v[10:11], v[12:13]
	s_clause 0x3
	scratch_load_b64 v[12:13], off, off offset:408 th:TH_LOAD_LU
	scratch_load_b128 v[14:17], off, off offset:892 th:TH_LOAD_LU
	scratch_load_b64 v[62:63], off, off offset:352 th:TH_LOAD_LU
	scratch_load_b64 v[18:19], off, off offset:980 th:TH_LOAD_LU
	s_wait_loadcnt 0x2
	v_mul_f64_e32 v[126:127], v[12:13], v[16:17]
	v_mul_f64_e32 v[12:13], v[10:11], v[16:17]
	scratch_load_b128 v[14:17], off, off offset:168 th:TH_LOAD_LU ; 16-byte Folded Reload
	s_wait_loadcnt 0x2
	v_mul_f64_e32 v[12:13], v[62:63], v[12:13]
	s_wait_loadcnt 0x0
	v_mov_b64_e32 v[14:15], v[16:17]
	s_delay_alu instid0(VALU_DEP_1) | instskip(SKIP_4) | instid1(VALU_DEP_4)
	v_mul_f64_e32 v[16:17], v[10:11], v[14:15]
	v_add_f64_e64 v[10:11], v[50:51], -v[24:25]
	v_mul_f64_e32 v[24:25], v[62:63], v[126:127]
	v_mul_f64_e32 v[14:15], v[22:23], v[14:15]
	v_add_f64_e64 v[50:51], v[78:79], -v[96:97]
	v_fma_f64 v[10:11], v[10:11], s[4:5], -v[52:53]
	v_mul_f64_e32 v[52:53], v[22:23], v[62:63]
	s_delay_alu instid0(VALU_DEP_1) | instskip(NEXT) | instid1(VALU_DEP_1)
	v_mul_f64_e32 v[52:53], v[62:63], v[52:53]
	v_fma_f64 v[10:11], v[52:53], v[10:11], -v[42:43]
	s_clause 0x1
	scratch_store_b64 off, v[10:11], off offset:264
	scratch_load_b64 v[10:11], off, off offset:956 th:TH_LOAD_LU
	s_wait_loadcnt 0x0
	v_mul_f64_e32 v[8:9], v[8:9], v[10:11]
	scratch_load_b64 v[10:11], off, off offset:988 th:TH_LOAD_LU ; 8-byte Folded Reload
	v_mul_f64_e32 v[8:9], v[4:5], v[8:9]
	s_wait_loadcnt 0x0
	s_delay_alu instid0(VALU_DEP_1)
	v_fmac_f64_e32 v[8:9], v[108:109], v[10:11]
	scratch_load_b64 v[10:11], off, off offset:940 th:TH_LOAD_LU ; 8-byte Folded Reload
	s_wait_loadcnt 0x0
	v_fmac_f64_e32 v[8:9], v[86:87], v[10:11]
	scratch_load_b64 v[10:11], off, off offset:948 th:TH_LOAD_LU ; 8-byte Folded Reload
	s_wait_loadcnt 0x0
	v_mul_f64_e32 v[10:11], v[92:93], v[10:11]
	s_delay_alu instid0(VALU_DEP_1) | instskip(NEXT) | instid1(VALU_DEP_1)
	v_mul_f64_e32 v[10:11], v[4:5], v[10:11]
	v_fmac_f64_e32 v[10:11], v[118:119], v[18:19]
	scratch_load_b64 v[18:19], off, off offset:932 th:TH_LOAD_LU ; 8-byte Folded Reload
	s_wait_loadcnt 0x0
	v_fmac_f64_e32 v[10:11], v[122:123], v[18:19]
	s_clause 0x1
	scratch_load_b64 v[18:19], off, off offset:248 th:TH_LOAD_LU
	scratch_store_b64 off, v[10:11], off offset:168
	s_wait_xcnt 0x0
	v_mul_f64_e32 v[10:11], v[62:63], v[84:85]
	s_delay_alu instid0(VALU_DEP_1) | instskip(NEXT) | instid1(VALU_DEP_1)
	v_mul_f64_e32 v[10:11], v[120:121], v[10:11]
	v_mul_f64_e32 v[10:11], v[4:5], v[10:11]
	s_wait_loadcnt 0x0
	v_mul_f64_e32 v[24:25], v[18:19], v[24:25]
	s_delay_alu instid0(VALU_DEP_1)
	v_fmac_f64_e32 v[10:11], v[106:107], v[24:25]
	v_mul_f64_e32 v[24:25], v[62:63], v[14:15]
	v_mul_f64_e32 v[14:15], v[62:63], v[16:17]
	scratch_load_b64 v[16:17], off, off offset:860 th:TH_LOAD_LU ; 8-byte Folded Reload
	v_fmac_f64_e32 v[10:11], v[100:101], v[24:25]
	v_mul_f64_e32 v[24:25], v[120:121], v[12:13]
	scratch_load_b64 v[120:121], off, off offset:200 ; 8-byte Folded Reload
	v_mul_f64_e32 v[12:13], v[100:101], v[12:13]
	v_mul_f64_e32 v[14:15], v[106:107], v[14:15]
	v_add_f64_e64 v[8:9], v[10:11], -v[8:9]
	s_delay_alu instid0(VALU_DEP_2) | instskip(SKIP_3) | instid1(VALU_DEP_2)
	v_fmac_f64_e32 v[14:15], v[18:19], v[12:13]
	v_mul_f64_e32 v[12:13], v[18:19], v[24:25]
	v_mul_f64_e32 v[24:25], v[62:63], v[64:65]
	s_wait_loadcnt 0x0
	v_mul_f64_e32 v[42:43], v[120:121], v[12:13]
	scratch_load_b64 v[12:13], off, off offset:924 th:TH_LOAD_LU ; 8-byte Folded Reload
	v_fmac_f64_e32 v[42:43], v[106:107], v[24:25]
	s_wait_loadcnt 0x0
	v_mul_f64_e32 v[28:29], v[120:121], v[12:13]
	scratch_load_b64 v[12:13], off, off offset:908 th:TH_LOAD_LU ; 8-byte Folded Reload
	s_wait_loadcnt 0x0
	v_fmac_f64_e32 v[28:29], v[108:109], v[12:13]
	scratch_load_b64 v[12:13], off, off offset:916 th:TH_LOAD_LU ; 8-byte Folded Reload
	s_wait_loadcnt 0x0
	v_mul_f64_e32 v[12:13], v[120:121], v[12:13]
	s_delay_alu instid0(VALU_DEP_1)
	v_fmac_f64_e32 v[12:13], v[118:119], v[16:17]
	s_clause 0x2
	scratch_store_b64 off, v[12:13], off offset:248
	scratch_load_b64 v[12:13], off, off offset:80 th:TH_LOAD_LU
	scratch_load_b64 v[16:17], off, off offset:64 th:TH_LOAD_LU
	s_wait_loadcnt 0x0
	v_add_f64_e64 v[12:13], v[16:17], -v[12:13]
	scratch_load_b64 v[16:17], off, off offset:72 th:TH_LOAD_LU ; 8-byte Folded Reload
	v_mul_f64_e32 v[12:13], 0x3fb5555555555555, v[12:13]
	s_delay_alu instid0(VALU_DEP_1)
	v_fma_f64 v[12:13], v[50:51], s[4:5], -v[12:13]
	v_add_f64_e64 v[50:51], v[66:67], -v[44:45]
	s_wait_loadcnt 0x0
	v_add_f64_e64 v[24:25], v[36:37], -v[16:17]
	scratch_load_b64 v[16:17], off, off offset:708 th:TH_LOAD_LU ; 8-byte Folded Reload
	v_mul_f64_e32 v[24:25], 0x3fb5555555555555, v[24:25]
	s_delay_alu instid0(VALU_DEP_1)
	v_fma_f64 v[24:25], v[40:41], s[4:5], -v[24:25]
	v_add_f64_e64 v[40:41], v[60:61], -v[38:39]
	s_wait_loadcnt 0x0
	v_mul_f64_e32 v[12:13], v[16:17], v[12:13]
	scratch_load_b64 v[16:17], off, off offset:424 th:TH_LOAD_LU ; 8-byte Folded Reload
	s_wait_loadcnt 0x0
	v_fma_f64 v[36:37], v[16:17], v[24:25], -v[12:13]
	s_clause 0x2
	scratch_load_b64 v[12:13], off, off offset:120 th:TH_LOAD_LU
	scratch_load_b64 v[16:17], off, off offset:88 th:TH_LOAD_LU
	;; [unrolled: 1-line block ×3, first 2 shown]
	s_wait_loadcnt 0x2
	v_add_f64_e64 v[12:13], v[12:13], -v[90:91]
	s_wait_loadcnt 0x0
	v_add_f64_e64 v[24:25], v[16:17], -v[18:19]
	scratch_load_b64 v[18:19], off, off offset:488 th:TH_LOAD_LU ; 8-byte Folded Reload
	v_mul_f64_e32 v[12:13], 0x3fb5555555555555, v[12:13]
	v_mul_f64_e32 v[24:25], 0x3fb5555555555555, v[24:25]
	s_delay_alu instid0(VALU_DEP_2) | instskip(NEXT) | instid1(VALU_DEP_2)
	v_fma_f64 v[12:13], v[50:51], s[4:5], -v[12:13]
	v_fma_f64 v[24:25], v[40:41], s[4:5], -v[24:25]
	s_wait_loadcnt 0x0
	s_delay_alu instid0(VALU_DEP_2)
	v_mul_f64_e32 v[12:13], v[18:19], v[12:13]
	scratch_load_b64 v[18:19], off, off offset:496 th:TH_LOAD_LU ; 8-byte Folded Reload
	s_wait_loadcnt 0x0
	v_fma_f64 v[118:119], v[18:19], v[24:25], -v[12:13]
	s_clause 0x1
	scratch_load_b64 v[12:13], off, off offset:136 th:TH_LOAD_LU
	scratch_load_b64 v[16:17], off, off offset:112 th:TH_LOAD_LU
	s_wait_loadcnt 0x0
	v_add_f64_e64 v[12:13], v[12:13], -v[16:17]
	s_clause 0x1
	scratch_load_b64 v[16:17], off, off offset:96 th:TH_LOAD_LU
	scratch_load_b64 v[18:19], off, off offset:104 th:TH_LOAD_LU
	v_mul_f64_e32 v[12:13], 0x3fb5555555555555, v[12:13]
	s_wait_loadcnt 0x0
	v_add_f64_e64 v[24:25], v[16:17], -v[18:19]
	s_clause 0x1
	scratch_load_b64 v[16:17], off, off offset:144 th:TH_LOAD_LU
	scratch_load_b64 v[18:19], off, off offset:160 th:TH_LOAD_LU
	v_mul_f64_e32 v[24:25], 0x3fb5555555555555, v[24:25]
	s_wait_loadcnt 0x0
	v_add_f64_e64 v[50:51], v[16:17], -v[18:19]
	s_clause 0x2
	scratch_load_b64 v[16:17], off, off offset:184 th:TH_LOAD_LU
	scratch_load_b64 v[18:19], off, off offset:152 th:TH_LOAD_LU
	;; [unrolled: 1-line block ×3, first 2 shown]
	v_fma_f64 v[24:25], v[50:51], s[4:5], -v[24:25]
	s_wait_loadcnt 0x1
	v_add_f64_e64 v[52:53], v[16:17], -v[18:19]
	scratch_load_b64 v[18:19], off, off offset:464 th:TH_LOAD_LU ; 8-byte Folded Reload
	v_fma_f64 v[12:13], v[52:53], s[4:5], -v[12:13]
	s_wait_loadcnt 0x0
	s_delay_alu instid0(VALU_DEP_1)
	v_mul_f64_e32 v[12:13], v[18:19], v[12:13]
	scratch_load_b64 v[18:19], off, off offset:472 th:TH_LOAD_LU ; 8-byte Folded Reload
	s_wait_loadcnt 0x0
	v_fma_f64 v[44:45], v[18:19], v[24:25], -v[12:13]
	s_clause 0x3
	scratch_load_b64 v[18:19], off, off offset:668 th:TH_LOAD_LU
	scratch_load_b64 v[22:23], off, off offset:676 th:TH_LOAD_LU
	scratch_load_b64 v[66:67], off, off offset:700 th:TH_LOAD_LU
	scratch_load_b64 v[40:41], off, off offset:684 th:TH_LOAD_LU
	v_mul_f64_e32 v[12:13], v[4:5], v[64:65]
	scratch_store_b64 off, v[8:9], off offset:80 ; 8-byte Folded Spill
	s_wait_xcnt 0x0
	v_add_f64_e64 v[8:9], v[42:43], -v[28:29]
	s_clause 0x2
	scratch_load_b64 v[16:17], off, off offset:876 th:TH_LOAD_LU
	scratch_load_b64 v[10:11], off, off offset:256 th:TH_LOAD_LU
	;; [unrolled: 1-line block ×3, first 2 shown]
	v_mul_f64_e32 v[12:13], v[64:65], v[12:13]
	s_clause 0x1
	scratch_store_b64 off, v[8:9], off offset:88
	scratch_load_b64 v[8:9], off, off offset:328 th:TH_LOAD_LU
	v_mul_f64_e32 v[12:13], v[4:5], v[12:13]
	s_wait_loadcnt 0x6
	v_fma_f64 v[24:25], 2.0, v[18:19], v[22:23]
	s_wait_loadcnt 0x4
	s_delay_alu instid0(VALU_DEP_2) | instskip(SKIP_1) | instid1(VALU_DEP_3)
	v_fma_f64 v[52:53], v[40:41], v[40:41], v[12:13]
	v_mul_f64_e32 v[60:61], v[40:41], v[40:41]
	v_mul_f64_e32 v[50:51], v[24:25], v[66:67]
	s_delay_alu instid0(VALU_DEP_3) | instskip(SKIP_2) | instid1(VALU_DEP_3)
	v_mul_f64_e32 v[52:53], v[18:19], v[52:53]
	s_wait_loadcnt 0x0
	v_add_f64_e64 v[8:9], v[14:15], -v[8:9]
	v_mul_f64_e32 v[50:51], v[0:1], v[50:51]
	scratch_store_b64 off, v[8:9], off offset:96 ; 8-byte Folded Spill
	v_mul_f64_e32 v[50:51], v[66:67], v[50:51]
	s_delay_alu instid0(VALU_DEP_1) | instskip(SKIP_1) | instid1(VALU_DEP_1)
	v_fmac_f64_e32 v[52:53], v[0:1], v[50:51]
	v_mul_f64_e32 v[50:51], v[0:1], v[66:67]
	v_mul_f64_e32 v[50:51], v[66:67], v[50:51]
	s_delay_alu instid0(VALU_DEP_1) | instskip(SKIP_2) | instid1(VALU_DEP_3)
	v_fmac_f64_e32 v[60:61], v[0:1], v[50:51]
	v_fmac_f64_e32 v[12:13], v[0:1], v[50:51]
	v_mul_f64_e32 v[50:51], v[24:25], v[64:65]
	v_mul_f64_e32 v[60:61], v[18:19], v[60:61]
	s_delay_alu instid0(VALU_DEP_3) | instskip(NEXT) | instid1(VALU_DEP_3)
	v_mul_f64_e32 v[62:63], v[18:19], v[12:13]
	v_mul_f64_e32 v[50:51], v[4:5], v[50:51]
	;; [unrolled: 1-line block ×3, first 2 shown]
	s_delay_alu instid0(VALU_DEP_2) | instskip(NEXT) | instid1(VALU_DEP_2)
	v_mul_f64_e32 v[50:51], v[64:65], v[50:51]
	v_fmac_f64_e32 v[62:63], v[40:41], v[12:13]
	s_delay_alu instid0(VALU_DEP_2)
	v_fmac_f64_e32 v[60:61], v[4:5], v[50:51]
	v_add_f64_e32 v[50:51], v[18:19], v[22:23]
	scratch_load_b64 v[18:19], off, off offset:644 th:TH_LOAD_LU ; 8-byte Folded Reload
	s_wait_loadcnt 0x0
	v_mul_f64_e32 v[12:13], v[18:19], v[50:51]
	s_wait_xcnt 0x1
	v_mul_f64_e32 v[8:9], v[18:19], v[52:53]
	v_mul_f64_e32 v[14:15], v[18:19], v[62:63]
	s_delay_alu instid0(VALU_DEP_3) | instskip(SKIP_1) | instid1(VALU_DEP_2)
	v_mul_f64_e32 v[24:25], v[66:67], v[12:13]
	v_mul_f64_e32 v[12:13], v[12:13], v[64:65]
	;; [unrolled: 1-line block ×3, first 2 shown]
	s_delay_alu instid0(VALU_DEP_2)
	v_mul_f64_e32 v[66:67], v[12:13], v[40:41]
	scratch_load_b64 v[12:13], off, off offset:884 th:TH_LOAD_LU ; 8-byte Folded Reload
	v_mul_f64_e32 v[64:65], v[24:25], v[40:41]
	v_mul_f64_e32 v[24:25], v[2:3], v[16:17]
	scratch_load_b64 v[40:41], off, off offset:208 ; 8-byte Folded Reload
	v_mul_f64_e32 v[8:9], v[10:11], v[8:9]
	s_wait_loadcnt 0x1
	v_mul_f64_e32 v[12:13], v[56:57], v[12:13]
	s_delay_alu instid0(VALU_DEP_1)
	v_mul_f64_e32 v[108:109], v[4:5], v[12:13]
	scratch_load_b64 v[12:13], off, off offset:336 th:TH_LOAD_LU ; 8-byte Folded Reload
	v_fmac_f64_e32 v[108:109], v[20:21], v[24:25]
	s_wait_loadcnt 0x0
	v_mul_f64_e32 v[24:25], 0x3fb5555555555555, v[12:13]
	scratch_load_b64 v[12:13], off, off offset:344 th:TH_LOAD_LU ; 8-byte Folded Reload
	s_wait_loadcnt 0x0
	v_fma_f64 v[12:13], v[12:13], s[4:5], -v[24:25]
	s_clause 0x1
	scratch_store_b64 off, v[12:13], off offset:64
	scratch_load_b64 v[12:13], off, off offset:456 th:TH_LOAD_LU
	s_wait_loadcnt 0x0
	v_fmac_f64_e32 v[108:109], v[98:99], v[12:13]
	scratch_load_b64 v[12:13], off, off offset:868 th:TH_LOAD_LU ; 8-byte Folded Reload
	s_wait_loadcnt 0x0
	v_mul_f64_e32 v[16:17], v[56:57], v[12:13]
	s_delay_alu instid0(VALU_DEP_1) | instskip(NEXT) | instid1(VALU_DEP_1)
	v_mul_f64_e32 v[16:17], v[2:3], v[16:17]
	v_mul_f64_e32 v[24:25], v[120:121], v[16:17]
	scratch_load_b64 v[16:17], off, off offset:440 th:TH_LOAD_LU ; 8-byte Folded Reload
	s_wait_loadcnt 0x0
	v_fmac_f64_e32 v[24:25], v[20:21], v[16:17]
	scratch_load_b64 v[16:17], off, off offset:448 th:TH_LOAD_LU ; 8-byte Folded Reload
	s_wait_loadcnt 0x0
	v_mul_f64_e32 v[122:123], v[20:21], v[16:17]
	v_mul_f64_e32 v[16:17], v[98:99], v[12:13]
	scratch_load_b64 v[12:13], off, off offset:480 th:TH_LOAD_LU ; 8-byte Folded Reload
	v_fmac_f64_e32 v[122:123], v[2:3], v[16:17]
	v_mul_f64_e32 v[2:3], v[18:19], v[60:61]
	s_delay_alu instid0(VALU_DEP_1) | instskip(SKIP_2) | instid1(VALU_DEP_1)
	v_mul_f64_e32 v[2:3], v[10:11], v[2:3]
	s_wait_loadcnt 0x0
	v_mul_f64_e32 v[20:21], 0x3fb5555555555555, v[12:13]
	v_fma_f64 v[12:13], v[46:47], s[4:5], -v[20:21]
	s_clause 0x1
	scratch_store_b64 off, v[12:13], off offset:72
	scratch_load_b64 v[12:13], off, off offset:660 th:TH_LOAD_LU
	s_wait_loadcnt 0x0
	v_mul_f64_e32 v[16:17], v[12:13], v[2:3]
	scratch_load_b64 v[2:3], off, off offset:652 th:TH_LOAD_LU ; 8-byte Folded Reload
	s_wait_loadcnt 0x0
	v_mul_f64_e32 v[42:43], v[2:3], v[8:9]
	v_fmac_f64_e32 v[16:17], v[50:51], v[2:3]
	v_mul_f64_e32 v[8:9], v[40:41], v[66:67]
	s_delay_alu instid0(VALU_DEP_3) | instskip(NEXT) | instid1(VALU_DEP_2)
	v_fmac_f64_e32 v[42:43], v[50:51], v[12:13]
	v_mul_f64_e32 v[106:107], v[8:9], v[12:13]
	s_delay_alu instid0(VALU_DEP_4) | instskip(SKIP_1) | instid1(VALU_DEP_1)
	v_fmac_f64_e32 v[16:17], v[8:9], v[28:29]
	v_mul_f64_e32 v[8:9], v[120:121], v[64:65]
	v_fmac_f64_e32 v[106:107], v[2:3], v[8:9]
	v_mul_f64_e32 v[2:3], v[10:11], v[14:15]
	v_fmac_f64_e32 v[42:43], v[8:9], v[28:29]
	scratch_store_b64 off, v[2:3], off offset:104 ; 8-byte Folded Spill
	s_wait_xcnt 0x0
	v_add_f64_e32 v[2:3], v[112:113], v[16:17]
	s_clause 0x1
	scratch_store_b64 off, v[2:3], off offset:112
	scratch_load_b64 v[2:3], off, off offset:616 th:TH_LOAD_LU
	s_wait_loadcnt 0x0
	v_lshl_add_u64 v[8:9], v[2:3], 3, s[18:19]
	scratch_load_b64 v[2:3], off, off offset:584 th:TH_LOAD_LU ; 8-byte Folded Reload
	s_wait_loadcnt 0x0
	v_lshl_add_u64 v[14:15], v[2:3], 3, s[18:19]
	s_clause 0x1
	global_load_b64 v[8:9], v[8:9], off
	global_load_b64 v[14:15], v[14:15], off
	s_clause 0x2
	scratch_load_b64 v[2:3], off, off offset:600 th:TH_LOAD_LU
	scratch_load_b32 v10, off, off offset:416 th:TH_LOAD_LU
	scratch_load_b32 v11, off, off offset:380 th:TH_LOAD_LU
	s_wait_loadcnt 0x2
	v_lshl_add_u64 v[16:17], v[2:3], 3, s[18:19]
	scratch_load_b64 v[2:3], off, off offset:576 th:TH_LOAD_LU ; 8-byte Folded Reload
	s_wait_loadcnt 0x1
	v_dual_add_nc_u32 v10, s2, v10 :: v_dual_add_nc_u32 v11, s2, v11
	s_wait_loadcnt 0x0
	v_lshl_add_u64 v[38:39], v[2:3], 3, s[18:19]
	s_clause 0x1
	scratch_load_b32 v2, off, off offset:420 th:TH_LOAD_LU
	scratch_load_b32 v3, off, off offset:368 th:TH_LOAD_LU
	s_clause 0x1
	global_load_b64 v[16:17], v[16:17], off
	global_load_b64 v[38:39], v[38:39], off
	s_clause 0x2
	scratch_load_b64 v[12:13], off, off offset:560 th:TH_LOAD_LU
	scratch_load_b64 v[18:19], off, off offset:360 th:TH_LOAD_LU
	;; [unrolled: 1-line block ×3, first 2 shown]
	s_wait_loadcnt 0x5
	v_dual_add_nc_u32 v2, s2, v2 :: v_dual_add_nc_u32 v3, s2, v3
	s_clause 0x3
	global_load_b64 v[50:51], v2, s[18:19] scale_offset
	global_load_b64 v[52:53], v3, s[18:19] scale_offset
	;; [unrolled: 1-line block ×4, first 2 shown]
	scratch_load_b64 v[2:3], off, off offset:544 th:TH_LOAD_LU ; 8-byte Folded Reload
	s_wait_loadcnt 0x7
	v_mul_f64_e32 v[12:13], v[12:13], v[8:9]
	s_wait_loadcnt 0x6
	v_mul_f64_e32 v[8:9], v[18:19], v[8:9]
	v_mul_f64_e32 v[46:47], v[18:19], v[14:15]
	s_wait_loadcnt 0x5
	v_mul_f64_e32 v[14:15], v[20:21], v[14:15]
	s_mov_b32 s2, -1
	scratch_load_b64 v[10:11], off, off offset:48 th:TH_LOAD_LU ; 8-byte Folded Reload
	s_wait_loadcnt 0x5
	v_mul_f64_e32 v[62:63], v[20:21], v[50:51]
	v_mul_f64_e32 v[50:51], v[18:19], v[50:51]
	s_wait_loadcnt 0x1
	v_mul_f64_e32 v[64:65], v[2:3], v[16:17]
	scratch_load_b64 v[2:3], off, off offset:288 th:TH_LOAD_LU ; 8-byte Folded Reload
	s_wait_loadcnt 0x1
	v_mul_f64_e32 v[74:75], v[10:11], v[52:53]
	s_wait_loadcnt 0x0
	v_mul_f64_e32 v[16:17], v[2:3], v[16:17]
	v_mul_f64_e32 v[66:67], v[2:3], v[38:39]
	;; [unrolled: 1-line block ×3, first 2 shown]
	scratch_load_b64 v[2:3], off, off offset:608 th:TH_LOAD_LU ; 8-byte Folded Reload
	v_mul_f64_e32 v[38:39], v[10:11], v[38:39]
	s_wait_loadcnt 0x0
	v_lshl_add_u64 v[78:79], v[2:3], 3, s[18:19]
	scratch_load_b64 v[2:3], off, off offset:568 th:TH_LOAD_LU ; 8-byte Folded Reload
	s_wait_loadcnt 0x0
	v_lshl_add_u64 v[84:85], v[2:3], 3, s[18:19]
	global_load_b64 v[78:79], v[78:79], off
	scratch_load_b64 v[2:3], off, off offset:592 th:TH_LOAD_LU ; 8-byte Folded Reload
	s_wait_loadcnt 0x0
	v_lshl_add_u64 v[86:87], v[2:3], 3, s[18:19]
	global_load_b64 v[84:85], v[84:85], off
	scratch_load_b64 v[2:3], off, off offset:552 th:TH_LOAD_LU ; 8-byte Folded Reload
	s_wait_loadcnt 0x0
	v_lshl_add_u64 v[88:89], v[2:3], 3, s[18:19]
	s_clause 0x1
	global_load_b64 v[86:87], v[86:87], off
	global_load_b64 v[88:89], v[88:89], off
	s_clause 0x1
	scratch_load_b64 v[2:3], off, off offset:536 th:TH_LOAD_LU
	scratch_load_b64 v[10:11], off, off offset:320 th:TH_LOAD_LU
	s_wait_loadcnt 0x1
	v_mul_f64_e32 v[90:91], v[2:3], v[78:79]
	s_wait_loadcnt 0x0
	s_wait_xcnt 0x7
	v_mul_f64_e32 v[78:79], v[10:11], v[78:79]
	v_mul_f64_e32 v[92:93], v[10:11], v[84:85]
	;; [unrolled: 1-line block ×3, first 2 shown]
	s_clause 0x1
	scratch_load_b64 v[10:11], off, off offset:528 th:TH_LOAD_LU
	scratch_load_b64 v[2:3], off, off offset:40 th:TH_LOAD_LU
	s_wait_loadcnt 0x1
	v_mul_f64_e32 v[100:101], v[10:11], v[86:87]
	s_clause 0x1
	scratch_load_b64 v[10:11], off, off offset:296 th:TH_LOAD_LU
	scratch_load_b64 v[18:19], off, off offset:32 th:TH_LOAD_LU
	s_wait_loadcnt 0x2
	s_wait_xcnt 0x9
	v_mul_f64_e32 v[84:85], v[2:3], v[84:85]
	v_mul_f64_e32 v[2:3], v[2:3], v[56:57]
	s_wait_loadcnt 0x1
	s_wait_xcnt 0x7
	v_mul_f64_e32 v[86:87], v[10:11], v[86:87]
	v_mul_f64_e32 v[112:113], v[10:11], v[88:89]
	;; [unrolled: 1-line block ×3, first 2 shown]
	scratch_load_b64 v[10:11], off, off offset:392 th:TH_LOAD_LU ; 8-byte Folded Reload
	s_wait_loadcnt 0x0
	v_add_f64_e32 v[42:43], v[10:11], v[42:43]
	scratch_load_b64 v[10:11], off, off offset:24 th:TH_LOAD_LU ; 8-byte Folded Reload
	s_wait_xcnt 0x8
	v_mul_f64_e32 v[88:89], v[18:19], v[88:89]
	v_mul_f64_e32 v[126:127], v[18:19], v[60:61]
	s_wait_loadcnt 0x0
	v_mul_f64_e32 v[18:19], v[10:11], v[46:47]
	v_mul_f64_e32 v[46:47], v[10:11], v[14:15]
	scratch_load_b64 v[14:15], off, off th:TH_LOAD_LU ; 8-byte Folded Reload
	v_mul_f64_e32 v[22:23], v[10:11], v[12:13]
	v_mul_f64_e32 v[8:9], v[10:11], v[8:9]
	;; [unrolled: 1-line block ×4, first 2 shown]
	s_delay_alu instid0(VALU_DEP_4)
	v_mul_f64_e32 v[22:23], v[110:111], v[22:23]
	s_wait_loadcnt 0x0
	v_mul_f64_e32 v[10:11], v[14:15], v[16:17]
	v_mul_f64_e32 v[16:17], v[14:15], v[66:67]
	;; [unrolled: 1-line block ×6, first 2 shown]
	scratch_load_b64 v[52:53], off, off offset:16 th:TH_LOAD_LU ; 8-byte Folded Reload
	s_wait_loadcnt 0x0
	v_mul_f64_e32 v[20:21], v[52:53], v[84:85]
	v_mul_f64_e32 v[84:85], v[52:53], v[90:91]
	;; [unrolled: 1-line block ×3, first 2 shown]
	scratch_load_b64 v[2:3], off, off offset:8 th:TH_LOAD_LU ; 8-byte Folded Reload
	v_mul_f64_e32 v[78:79], v[52:53], v[78:79]
	v_mul_f64_e32 v[50:51], v[52:53], v[92:93]
	v_mul_f64_e32 v[92:93], v[52:53], v[98:99]
	s_wait_loadcnt 0x0
	v_mul_f64_e32 v[86:87], v[2:3], v[86:87]
	v_mul_f64_e32 v[52:53], v[2:3], v[112:113]
	;; [unrolled: 1-line block ×6, first 2 shown]
	s_clause 0x1
	scratch_load_b64 v[2:3], off, off offset:240 th:TH_LOAD_LU
	scratch_load_b128 v[98:101], off, off offset:216 th:TH_LOAD_LU
	v_mul_f64_e32 v[112:113], v[114:115], v[60:61]
	v_dual_mul_f64 v[60:61], v[76:77], v[78:79] :: v_dual_mov_b32 v126, v71
	s_delay_alu instid0(VALU_DEP_1) | instskip(SKIP_2) | instid1(VALU_DEP_1)
	v_mul_f64_e32 v[60:61], v[6:7], v[60:61]
	s_wait_loadcnt 0x1
	v_mul_f64_e32 v[22:23], v[2:3], v[22:23]
	v_mul_f64_e32 v[62:63], v[40:41], v[22:23]
	;; [unrolled: 1-line block ×3, first 2 shown]
	s_delay_alu instid0(VALU_DEP_2)
	v_fmac_f64_e32 v[62:63], v[94:95], v[46:47]
	v_mul_f64_e32 v[46:47], v[114:115], v[8:9]
	v_mul_f64_e32 v[8:9], v[82:83], v[66:67]
	;; [unrolled: 1-line block ×4, first 2 shown]
	scratch_load_b64 v[14:15], off, off offset:248 th:TH_LOAD_LU ; 8-byte Folded Reload
	v_fmac_f64_e32 v[62:63], v[40:41], v[112:113]
	s_wait_loadcnt 0x1
	v_mul_f64_e32 v[8:9], v[98:99], v[8:9]
	s_delay_alu instid0(VALU_DEP_1)
	v_mul_f64_e32 v[66:67], v[40:41], v[8:9]
	v_mul_f64_e32 v[8:9], v[58:59], v[74:75]
	;; [unrolled: 1-line block ×5, first 2 shown]
	v_fmac_f64_e32 v[66:67], v[54:55], v[38:39]
	v_mul_f64_e32 v[38:39], v[54:55], v[10:11]
	v_mul_f64_e32 v[10:11], v[2:3], v[22:23]
	;; [unrolled: 1-line block ×5, first 2 shown]
	scratch_load_b64 v[12:13], off, off offset:168 th:TH_LOAD_LU ; 8-byte Folded Reload
	v_mul_f64_e32 v[104:105], 0x3fb5555555555555, v[118:119]
	v_fmac_f64_e32 v[96:97], v[98:99], v[74:75]
	v_fmac_f64_e32 v[66:67], v[40:41], v[8:9]
	v_mul_f64_e32 v[38:39], v[98:99], v[38:39]
	v_mul_f64_e32 v[94:95], v[40:41], v[10:11]
	scratch_load_b64 v[10:11], off, off offset:264 th:TH_LOAD_LU ; 8-byte Folded Reload
	v_mul_f64_e32 v[22:23], v[6:7], v[22:23]
	v_fmac_f64_e32 v[54:55], v[2:3], v[46:47]
	v_mul_f64_e32 v[2:3], v[116:117], v[78:79]
	v_mul_f64_e32 v[78:79], v[80:81], v[86:87]
	scratch_load_b64 v[8:9], off, off offset:304 th:TH_LOAD_LU ; 8-byte Folded Reload
	v_mul_f64_e32 v[46:47], v[124:125], v[88:89]
	v_fmac_f64_e32 v[90:91], v[100:101], v[84:85]
	v_mul_f64_e32 v[116:117], v[40:41], v[38:39]
	v_fmac_f64_e32 v[94:95], v[110:111], v[18:19]
	scratch_load_b64 v[18:19], off, off offset:80 th:TH_LOAD_LU ; 8-byte Folded Reload
	v_mul_f64_e32 v[86:87], v[40:41], v[22:23]
	v_mul_f64_e32 v[38:39], v[102:103], v[92:93]
	;; [unrolled: 1-line block ×4, first 2 shown]
	v_fmac_f64_e32 v[116:117], v[82:83], v[16:17]
	v_fmac_f64_e32 v[86:87], v[76:77], v[20:21]
	v_fma_f64 v[20:21], v[44:45], s[4:5], -v[104:105]
	v_fmac_f64_e32 v[38:39], v[6:7], v[2:3]
	v_mul_f64_e32 v[92:93], v[40:41], v[78:79]
	v_add_f64_e64 v[44:45], v[54:55], -v[96:97]
	v_mul_f64_e32 v[88:89], v[40:41], v[46:47]
	v_mul_f64_e32 v[46:47], v[40:41], v[60:61]
	v_add_f64_e64 v[6:7], v[94:95], -v[116:117]
	v_fmac_f64_e32 v[86:87], v[40:41], v[58:59]
	v_fmac_f64_e32 v[92:93], v[124:125], v[52:53]
	;; [unrolled: 1-line block ×4, first 2 shown]
	v_mul_f64_e32 v[6:7], 0x3fb5555555555555, v[6:7]
	s_delay_alu instid0(VALU_DEP_3)
	v_fmac_f64_e32 v[88:89], v[40:41], v[114:115]
	s_wait_loadcnt 0x4
	v_add_f64_e64 v[14:15], v[24:25], -v[14:15]
	s_wait_loadcnt 0x2
	v_mul_f64_e32 v[22:23], 0x3fb5555555555555, v[10:11]
	scratch_load_b64 v[10:11], off, off offset:96 th:TH_LOAD_LU ; 8-byte Folded Reload
	v_fma_f64 v[16:17], v[36:37], s[4:5], -v[22:23]
	s_wait_loadcnt 0x1
	v_mul_f64_e32 v[22:23], 0x3fb5555555555555, v[18:19]
	scratch_load_b64 v[18:19], off, off offset:88 th:TH_LOAD_LU ; 8-byte Folded Reload
	v_add_f64_e64 v[12:13], v[108:109], -v[12:13]
	s_wait_loadcnt 0x1
	v_mul_f64_e32 v[10:11], 0x3fb5555555555555, v[10:11]
	s_wait_loadcnt 0x0
	v_mul_f64_e32 v[24:25], 0x3fb5555555555555, v[18:19]
	scratch_load_b64 v[18:19], off, off offset:104 th:TH_LOAD_LU ; 8-byte Folded Reload
	v_add_f64_e64 v[8:9], v[122:123], -v[8:9]
	s_delay_alu instid0(VALU_DEP_1)
	v_fma_f64 v[8:9], v[8:9], s[4:5], -v[10:11]
	v_fma_f64 v[10:11], v[12:13], s[4:5], -v[22:23]
	;; [unrolled: 1-line block ×3, first 2 shown]
	v_add_f64_e64 v[22:23], v[86:87], -v[88:89]
	s_wait_loadcnt 0x0
	v_fmac_f64_e32 v[106:107], v[28:29], v[18:19]
	s_clause 0x1
	scratch_load_b64 v[18:19], off, off offset:72 th:TH_LOAD_LU
	scratch_load_b64 v[28:29], off, off offset:112 th:TH_LOAD_LU
	v_add_f64_e32 v[2:3], v[48:49], v[106:107]
	s_delay_alu instid0(VALU_DEP_1)
	v_fmac_f64_e32 v[2:3], v[120:121], v[8:9]
	s_wait_loadcnt 0x0
	v_add_f64_e32 v[28:29], v[28:29], v[18:19]
	scratch_load_b64 v[18:19], off, off offset:64 th:TH_LOAD_LU ; 8-byte Folded Reload
	v_add_f64_e32 v[14:15], v[20:21], v[28:29]
	v_add_f64_e64 v[20:21], v[46:47], -v[92:93]
	v_mul_f64_e32 v[28:29], 0x3fb5555555555555, v[44:45]
	v_mov_b64_e32 v[92:93], v[40:41]
	s_delay_alu instid0(VALU_DEP_4) | instskip(NEXT) | instid1(VALU_DEP_4)
	v_add_f64_e32 v[8:9], v[14:15], v[12:13]
	v_fma_f64 v[6:7], v[20:21], s[4:5], -v[6:7]
	s_wait_loadcnt 0x0
	v_add_f64_e32 v[36:37], v[42:43], v[18:19]
	v_add_f64_e64 v[18:19], v[38:39], -v[90:91]
	v_add_f64_e64 v[42:43], v[62:63], -v[66:67]
	s_delay_alu instid0(VALU_DEP_3) | instskip(NEXT) | instid1(VALU_DEP_3)
	v_add_f64_e32 v[16:17], v[16:17], v[36:37]
	v_fma_f64 v[12:13], v[18:19], s[4:5], -v[28:29]
	s_delay_alu instid0(VALU_DEP_3) | instskip(SKIP_1) | instid1(VALU_DEP_4)
	v_mul_f64_e32 v[24:25], 0x3fb5555555555555, v[42:43]
	v_subrev_nc_u32_e32 v28, s26, v73
	v_fmac_f64_e32 v[16:17], v[120:121], v[10:11]
	s_delay_alu instid0(VALU_DEP_4) | instskip(NEXT) | instid1(VALU_DEP_4)
	v_fmac_f64_e32 v[2:3], v[92:93], v[12:13]
	v_fma_f64 v[10:11], v[22:23], s[4:5], -v[24:25]
	s_delay_alu instid0(VALU_DEP_3)
	v_add_f64_e32 v[16:17], v[16:17], v[6:7]
	scratch_load_b32 v6, off, off offset:628 th:TH_LOAD_LU ; 4-byte Folded Reload
	v_add_f64_e32 v[14:15], v[8:9], v[10:11]
	s_wait_loadcnt 0x0
	v_subrev_nc_u32_e32 v29, s26, v6
	scratch_load_b32 v6, off, off offset:632 th:TH_LOAD_LU ; 4-byte Folded Reload
	s_wait_loadcnt 0x0
	v_subrev_nc_u32_e32 v36, s26, v6
	scratch_load_b32 v6, off, off offset:624 th:TH_LOAD_LU ; 4-byte Folded Reload
	s_wait_loadcnt 0x0
	v_subrev_nc_u32_e32 v37, s26, v6
.LBB0_10:                               ; =>This Inner Loop Header: Depth=1
	s_delay_alu instid0(VALU_DEP_1) | instskip(SKIP_3) | instid1(VALU_DEP_3)
	v_dual_add_nc_u32 v22, s33, v37 :: v_dual_add_nc_u32 v50, s33, v36
	v_dual_add_nc_u32 v60, s33, v35 :: v_dual_add_nc_u32 v62, s33, v69
	s_wait_xcnt 0x0
	v_dual_add_nc_u32 v64, s33, v30 :: v_dual_add_nc_u32 v71, s33, v29
	v_dual_ashrrev_i32 v23, 31, v22 :: v_dual_add_nc_u32 v52, s33, v28
	v_ashrrev_i32_e32 v51, 31, v50
	v_dual_add_nc_u32 v66, s33, v70 :: v_dual_add_nc_u32 v73, s33, v72
	s_delay_alu instid0(VALU_DEP_3) | instskip(NEXT) | instid1(VALU_DEP_4)
	v_lshl_add_u64 v[18:19], v[22:23], 3, s[12:13]
	v_dual_ashrrev_i32 v53, 31, v52 :: v_dual_add_nc_u32 v78, s33, v31
	v_add_nc_u32_e32 v80, s33, v26
	s_clause 0x1
	global_load_b128 v[6:9], v[18:19], off offset:8
	global_load_b128 v[10:13], v[18:19], off offset:-16
	s_clause 0x1
	global_load_b64 v[24:25], v50, s[14:15] scale_offset
	global_load_b64 v[18:19], v50, s[16:17] scale_offset
	;; [unrolled: 1-line block ×3, first 2 shown]
	s_wait_xcnt 0x0
	v_lshl_add_u64 v[22:23], v[50:51], 3, s[12:13]
	v_lshl_add_u64 v[54:55], v[52:53], 3, s[12:13]
	s_clause 0x3
	global_load_b128 v[38:41], v[22:23], off offset:8
	global_load_b128 v[42:45], v[22:23], off offset:-16
	global_load_b128 v[46:49], v[54:55], off offset:8
	global_load_b128 v[54:57], v[54:55], off offset:-16
	global_load_b64 v[22:23], v50, s[18:19] scale_offset
	s_wait_xcnt 0x0
	v_dual_add_nc_u32 v50, s33, v34 :: v_dual_add_nc_u32 v53, s33, v68
	s_clause 0x5
	global_load_b64 v[50:51], v50, s[12:13] scale_offset
	global_load_b64 v[58:59], v53, s[12:13] scale_offset
	;; [unrolled: 1-line block ×7, first 2 shown]
	v_dual_add_nc_u32 v82, s33, v32 :: v_dual_add_nc_u32 v84, s33, v27
	v_add_nc_u32_e32 v86, s33, v33
	global_load_b64 v[74:75], v71, s[18:19] scale_offset
	s_clause 0x5
	global_load_b64 v[76:77], v73, s[12:13] scale_offset
	global_load_b64 v[78:79], v78, s[12:13] scale_offset
	;; [unrolled: 1-line block ×6, first 2 shown]
	s_wait_xcnt 0x6
	v_add_nc_u32_e32 v71, s2, v126
	s_add_co_i32 s2, s2, 6
	v_dual_add_nc_u32 v32, s21, v32 :: v_dual_add_nc_u32 v31, s21, v31
	v_add_nc_u32_e32 v26, s21, v26
	global_load_b64 v[88:89], v71, s[10:11] scale_offset
	v_add_nc_u32_e32 v27, s21, v27
	s_cmp_eq_u32 s2, 47
	v_dual_add_nc_u32 v33, s21, v33 :: v_dual_add_nc_u32 v70, s21, v70
	v_dual_add_nc_u32 v72, s21, v72 :: v_dual_add_nc_u32 v34, s21, v34
	;; [unrolled: 1-line block ×4, first 2 shown]
	v_add_nc_u32_e32 v69, s21, v69
	v_dual_add_nc_u32 v29, s21, v29 :: v_dual_add_nc_u32 v36, s21, v36
	s_wait_loadcnt 0x17
	v_dual_add_f64 v[8:9], v[8:9], -v[10:11] :: v_dual_add_nc_u32 v37, s21, v37
	s_wait_loadcnt 0x15
	v_fma_f64 v[10:11], 2.0, v[24:25], v[18:19]
	s_wait_loadcnt 0x14
	v_mul_f64_e32 v[90:91], v[24:25], v[20:21]
	v_add_f64_e64 v[6:7], v[6:7], -v[12:13]
	s_wait_loadcnt 0x12
	v_add_f64_e64 v[40:41], v[40:41], -v[42:43]
	v_add_f64_e64 v[38:39], v[38:39], -v[44:45]
	s_wait_loadcnt 0x10
	v_add_f64_e64 v[12:13], v[48:49], -v[54:55]
	;; [unrolled: 3-line block ×3, first 2 shown]
	s_wait_loadcnt 0x7
	v_mul_f64_e32 v[62:63], v[18:19], v[74:75]
	v_mul_f64_e32 v[54:55], v[24:25], v[52:53]
	;; [unrolled: 1-line block ×3, first 2 shown]
	s_wait_loadcnt 0x3
	v_add_f64_e64 v[56:57], v[80:81], -v[82:83]
	s_wait_loadcnt 0x1
	v_add_f64_e64 v[60:61], v[84:85], -v[86:87]
	v_mul_f64_e32 v[8:9], 0x3fb5555555555555, v[8:9]
	v_mul_f64_e32 v[44:45], v[10:11], v[20:21]
	;; [unrolled: 1-line block ×9, first 2 shown]
	v_fma_f64 v[6:7], v[6:7], s[4:5], -v[8:9]
	v_add_f64_e64 v[8:9], v[50:51], -v[58:59]
	v_add_f64_e64 v[50:51], v[64:65], -v[66:67]
	v_mul_f64_e32 v[44:45], v[44:45], v[22:23]
	v_fma_f64 v[38:39], v[38:39], s[4:5], -v[40:41]
	v_mul_f64_e32 v[58:59], v[18:19], v[52:53]
	v_fma_f64 v[12:13], v[42:43], s[4:5], -v[12:13]
	v_add_f64_e64 v[42:43], v[76:77], -v[78:79]
	v_mul_f64_e32 v[52:53], v[22:23], v[54:55]
	v_mul_f64_e32 v[10:11], v[22:23], v[10:11]
	;; [unrolled: 1-line block ×12, first 2 shown]
	v_fma_f64 v[8:9], v[42:43], s[4:5], -v[8:9]
	v_fma_f64 v[42:43], v[56:57], s[4:5], -v[48:49]
	;; [unrolled: 1-line block ×3, first 2 shown]
	v_mul_f64_e32 v[44:45], v[0:1], v[44:45]
	v_mul_f64_e32 v[56:57], v[38:39], v[62:63]
	;; [unrolled: 1-line block ×7, first 2 shown]
	v_fmac_f64_e32 v[6:7], v[120:121], v[44:45]
	v_mul_f64_e32 v[44:45], v[120:121], v[50:51]
	v_fmac_f64_e32 v[40:41], v[58:59], v[38:39]
	v_mul_f64_e32 v[20:21], v[4:5], v[54:55]
	v_mul_f64_e32 v[10:11], v[4:5], v[10:11]
	;; [unrolled: 1-line block ×3, first 2 shown]
	v_fmac_f64_e32 v[6:7], v[120:121], v[12:13]
	v_mul_f64_e32 v[12:13], v[24:25], v[48:49]
	v_fmac_f64_e32 v[44:45], v[120:121], v[56:57]
	v_fmac_f64_e32 v[40:41], v[46:47], v[8:9]
	v_mul_f64_e32 v[8:9], v[18:19], v[22:23]
	v_mul_f64_e32 v[18:19], v[62:63], v[42:43]
	v_fmac_f64_e32 v[6:7], v[92:93], v[20:21]
	v_fmac_f64_e32 v[44:45], v[92:93], v[38:39]
	;; [unrolled: 1-line block ×3, first 2 shown]
	s_delay_alu instid0(VALU_DEP_3) | instskip(NEXT) | instid1(VALU_DEP_3)
	v_fmac_f64_e32 v[6:7], v[8:9], v[42:43]
	v_fmac_f64_e32 v[44:45], v[92:93], v[18:19]
	s_delay_alu instid0(VALU_DEP_3) | instskip(SKIP_1) | instid1(VALU_DEP_3)
	v_fmac_f64_e32 v[40:41], v[92:93], v[12:13]
	s_wait_loadcnt 0x0
	v_fmac_f64_e32 v[16:17], v[88:89], v[6:7]
	s_delay_alu instid0(VALU_DEP_3) | instskip(NEXT) | instid1(VALU_DEP_3)
	v_fmac_f64_e32 v[2:3], v[88:89], v[44:45]
	v_fmac_f64_e32 v[14:15], v[88:89], v[40:41]
	s_cbranch_scc0 .LBB0_10
; %bb.11:
	v_mul_f64_e32 v[0:1], v[0:1], v[4:5]
	scratch_load_b64 v[4:5], off, off offset:232 th:TH_LOAD_LU ; 8-byte Folded Reload
	s_load_b128 s[0:3], s[0:1], 0x30
	s_wait_kmcnt 0x0
	v_mul_f64_e32 v[2:3], s[2:3], v[2:3]
	s_wait_loadcnt 0x0
	v_lshl_add_u64 v[4:5], v[4:5], 3, s[6:7]
	global_load_b64 v[6:7], v[4:5], off
	scratch_load_b64 v[20:21], off, off offset:192 th:TH_LOAD_LU ; 8-byte Folded Reload
	s_wait_loadcnt 0x1
	v_mul_f64_e32 v[6:7], s[0:1], v[6:7]
	s_wait_loadcnt 0x0
	v_div_scale_f64 v[8:9], null, v[20:21], v[20:21], v[0:1]
	v_div_scale_f64 v[18:19], vcc_lo, v[0:1], v[20:21], v[0:1]
	s_delay_alu instid0(VALU_DEP_2) | instskip(SKIP_1) | instid1(TRANS32_DEP_1)
	v_rcp_f64_e32 v[10:11], v[8:9]
	v_nop
	v_fma_f64 v[12:13], -v[8:9], v[10:11], 1.0
	s_delay_alu instid0(VALU_DEP_1) | instskip(NEXT) | instid1(VALU_DEP_1)
	v_fmac_f64_e32 v[10:11], v[10:11], v[12:13]
	v_fma_f64 v[12:13], -v[8:9], v[10:11], 1.0
	s_delay_alu instid0(VALU_DEP_1) | instskip(NEXT) | instid1(VALU_DEP_1)
	v_fmac_f64_e32 v[10:11], v[10:11], v[12:13]
	v_mul_f64_e32 v[12:13], v[18:19], v[10:11]
	s_delay_alu instid0(VALU_DEP_1) | instskip(NEXT) | instid1(VALU_DEP_1)
	v_fma_f64 v[8:9], -v[8:9], v[12:13], v[18:19]
	v_div_fmas_f64 v[8:9], v[8:9], v[10:11], v[12:13]
	v_mul_f64_e32 v[10:11], s[2:3], v[16:17]
	s_delay_alu instid0(VALU_DEP_2)
	v_div_fixup_f64 v[0:1], v[8:9], v[20:21], v[0:1]
	scratch_load_b64 v[8:9], off, off offset:280 th:TH_LOAD_LU ; 8-byte Folded Reload
	v_fmac_f64_e32 v[6:7], v[0:1], v[10:11]
	global_store_b64 v[4:5], v[6:7], off
	s_wait_xcnt 0x0
	v_mul_f64_e32 v[6:7], s[2:3], v[14:15]
	s_wait_loadcnt 0x0
	v_lshl_add_u64 v[8:9], v[8:9], 3, s[6:7]
	global_load_b64 v[4:5], v[8:9], off
	s_wait_loadcnt 0x0
	v_mul_f64_e32 v[4:5], s[0:1], v[4:5]
	s_delay_alu instid0(VALU_DEP_1)
	v_fmac_f64_e32 v[4:5], v[0:1], v[6:7]
	scratch_load_b64 v[6:7], off, off offset:372 th:TH_LOAD_LU ; 8-byte Folded Reload
	global_store_b64 v[8:9], v[4:5], off
	s_wait_loadcnt 0x0
	v_lshl_add_u64 v[6:7], v[6:7], 3, s[6:7]
	global_load_b64 v[4:5], v[6:7], off
	s_wait_loadcnt 0x0
	v_mul_f64_e32 v[4:5], s[0:1], v[4:5]
	s_delay_alu instid0(VALU_DEP_1)
	v_fmac_f64_e32 v[4:5], v[0:1], v[2:3]
	global_store_b64 v[6:7], v[4:5], off
.LBB0_12:
	s_sendmsg sendmsg(MSG_DEALLOC_VGPRS)
	s_endpgm
	.section	.rodata,"a",@progbits
	.p2align	6, 0x0
	.amdhsa_kernel _Z7kernel1iiiiiiiiiiiiddPKdS0_S0_S0_S0_PdS0_S0_S0_S0_S0_S0_S0_
		.amdhsa_group_segment_fixed_size 0
		.amdhsa_private_segment_fixed_size 1000
		.amdhsa_kernarg_size 424
		.amdhsa_user_sgpr_count 2
		.amdhsa_user_sgpr_dispatch_ptr 0
		.amdhsa_user_sgpr_queue_ptr 0
		.amdhsa_user_sgpr_kernarg_segment_ptr 1
		.amdhsa_user_sgpr_dispatch_id 0
		.amdhsa_user_sgpr_kernarg_preload_length 0
		.amdhsa_user_sgpr_kernarg_preload_offset 0
		.amdhsa_user_sgpr_private_segment_size 0
		.amdhsa_wavefront_size32 1
		.amdhsa_uses_dynamic_stack 0
		.amdhsa_enable_private_segment 1
		.amdhsa_system_sgpr_workgroup_id_x 1
		.amdhsa_system_sgpr_workgroup_id_y 1
		.amdhsa_system_sgpr_workgroup_id_z 1
		.amdhsa_system_sgpr_workgroup_info 0
		.amdhsa_system_vgpr_workitem_id 2
		.amdhsa_next_free_vgpr 128
		.amdhsa_next_free_sgpr 48
		.amdhsa_named_barrier_count 0
		.amdhsa_reserve_vcc 1
		.amdhsa_float_round_mode_32 0
		.amdhsa_float_round_mode_16_64 0
		.amdhsa_float_denorm_mode_32 3
		.amdhsa_float_denorm_mode_16_64 3
		.amdhsa_fp16_overflow 0
		.amdhsa_memory_ordered 1
		.amdhsa_forward_progress 1
		.amdhsa_inst_pref_size 115
		.amdhsa_round_robin_scheduling 0
		.amdhsa_exception_fp_ieee_invalid_op 0
		.amdhsa_exception_fp_denorm_src 0
		.amdhsa_exception_fp_ieee_div_zero 0
		.amdhsa_exception_fp_ieee_overflow 0
		.amdhsa_exception_fp_ieee_underflow 0
		.amdhsa_exception_fp_ieee_inexact 0
		.amdhsa_exception_int_div_zero 0
	.end_amdhsa_kernel
	.text
.Lfunc_end0:
	.size	_Z7kernel1iiiiiiiiiiiiddPKdS0_S0_S0_S0_PdS0_S0_S0_S0_S0_S0_S0_, .Lfunc_end0-_Z7kernel1iiiiiiiiiiiiddPKdS0_S0_S0_S0_PdS0_S0_S0_S0_S0_S0_S0_
                                        ; -- End function
	.set _Z7kernel1iiiiiiiiiiiiddPKdS0_S0_S0_S0_PdS0_S0_S0_S0_S0_S0_S0_.num_vgpr, 128
	.set _Z7kernel1iiiiiiiiiiiiddPKdS0_S0_S0_S0_PdS0_S0_S0_S0_S0_S0_S0_.num_agpr, 0
	.set _Z7kernel1iiiiiiiiiiiiddPKdS0_S0_S0_S0_PdS0_S0_S0_S0_S0_S0_S0_.numbered_sgpr, 48
	.set _Z7kernel1iiiiiiiiiiiiddPKdS0_S0_S0_S0_PdS0_S0_S0_S0_S0_S0_S0_.num_named_barrier, 0
	.set _Z7kernel1iiiiiiiiiiiiddPKdS0_S0_S0_S0_PdS0_S0_S0_S0_S0_S0_S0_.private_seg_size, 1000
	.set _Z7kernel1iiiiiiiiiiiiddPKdS0_S0_S0_S0_PdS0_S0_S0_S0_S0_S0_S0_.uses_vcc, 1
	.set _Z7kernel1iiiiiiiiiiiiddPKdS0_S0_S0_S0_PdS0_S0_S0_S0_S0_S0_S0_.uses_flat_scratch, 1
	.set _Z7kernel1iiiiiiiiiiiiddPKdS0_S0_S0_S0_PdS0_S0_S0_S0_S0_S0_S0_.has_dyn_sized_stack, 0
	.set _Z7kernel1iiiiiiiiiiiiddPKdS0_S0_S0_S0_PdS0_S0_S0_S0_S0_S0_S0_.has_recursion, 0
	.set _Z7kernel1iiiiiiiiiiiiddPKdS0_S0_S0_S0_PdS0_S0_S0_S0_S0_S0_S0_.has_indirect_call, 0
	.section	.AMDGPU.csdata,"",@progbits
; Kernel info:
; codeLenInByte = 14688
; TotalNumSgprs: 50
; NumVgprs: 128
; ScratchSize: 1000
; MemoryBound: 0
; FloatMode: 240
; IeeeMode: 1
; LDSByteSize: 0 bytes/workgroup (compile time only)
; SGPRBlocks: 0
; VGPRBlocks: 7
; NumSGPRsForWavesPerEU: 50
; NumVGPRsForWavesPerEU: 128
; NamedBarCnt: 0
; Occupancy: 8
; WaveLimiterHint : 0
; COMPUTE_PGM_RSRC2:SCRATCH_EN: 1
; COMPUTE_PGM_RSRC2:USER_SGPR: 2
; COMPUTE_PGM_RSRC2:TRAP_HANDLER: 0
; COMPUTE_PGM_RSRC2:TGID_X_EN: 1
; COMPUTE_PGM_RSRC2:TGID_Y_EN: 1
; COMPUTE_PGM_RSRC2:TGID_Z_EN: 1
; COMPUTE_PGM_RSRC2:TIDIG_COMP_CNT: 2
	.text
	.protected	_Z7kernel2iiiiiiiiiiiiddPKdS0_S0_S0_S0_PdS0_S0_S0_S0_S0_S0_S0_ ; -- Begin function _Z7kernel2iiiiiiiiiiiiddPKdS0_S0_S0_S0_PdS0_S0_S0_S0_S0_S0_S0_
	.globl	_Z7kernel2iiiiiiiiiiiiddPKdS0_S0_S0_S0_PdS0_S0_S0_S0_S0_S0_S0_
	.p2align	8
	.type	_Z7kernel2iiiiiiiiiiiiddPKdS0_S0_S0_S0_PdS0_S0_S0_S0_S0_S0_S0_,@function
_Z7kernel2iiiiiiiiiiiiddPKdS0_S0_S0_S0_PdS0_S0_S0_S0_S0_S0_S0_: ; @_Z7kernel2iiiiiiiiiiiiddPKdS0_S0_S0_S0_PdS0_S0_S0_S0_S0_S0_S0_
; %bb.0:
	s_clause 0x1
	s_load_b64 s[2:3], s[0:1], 0xb4
	s_load_b256 s[16:23], s[0:1], 0x0
	s_bfe_u32 s8, ttmp6, 0x40010
	s_bfe_u32 s5, ttmp6, 0x40014
	;; [unrolled: 1-line block ×3, first 2 shown]
	s_and_b32 s7, ttmp7, 0xffff
	s_add_co_i32 s8, s8, 1
	s_lshr_b32 s4, ttmp7, 16
	s_add_co_i32 s5, s5, 1
	s_add_co_i32 s11, s11, 1
	s_bfe_u32 s9, ttmp6, 0x40004
	s_mul_i32 s8, s7, s8
	s_bfe_u32 s6, ttmp6, 0x40008
	s_and_b32 s10, ttmp6, 15
	s_mul_i32 s5, s4, s5
	s_mul_i32 s11, ttmp9, s11
	s_add_co_i32 s9, s9, s8
	s_getreg_b32 s8, hwreg(HW_REG_IB_STS2, 6, 4)
	s_add_co_i32 s6, s6, s5
	s_add_co_i32 s10, s10, s11
	s_wait_kmcnt 0x0
	s_and_b32 s3, s3, 0xffff
	s_lshr_b32 s5, s2, 16
	s_and_b32 s2, s2, 0xffff
	s_cmp_eq_u32 s8, 0
	v_and_b32_e32 v1, 0x3ff, v0
	s_cselect_b32 s8, ttmp9, s10
	v_bfe_u32 v2, v0, 10, 10
	s_mul_i32 s8, s8, s2
	s_cselect_b32 s2, s7, s9
	v_bfe_u32 v0, v0, 20, 10
	s_mul_i32 s2, s2, s5
	s_cselect_b32 s4, s4, s6
	v_add3_u32 v124, s8, s16, v1
	v_add3_u32 v109, s2, s18, v2
	s_mul_i32 s4, s4, s3
	s_delay_alu instid0(SALU_CYCLE_1) | instskip(NEXT) | instid1(VALU_DEP_3)
	v_add3_u32 v5, s4, s20, v0
	v_cmp_gt_i32_e32 vcc_lo, s17, v124
	s_delay_alu instid0(VALU_DEP_3) | instskip(NEXT) | instid1(VALU_DEP_3)
	v_cmp_gt_i32_e64 s2, s19, v109
	v_cmp_gt_i32_e64 s3, s21, v5
	s_and_b32 s2, vcc_lo, s2
	s_delay_alu instid0(SALU_CYCLE_1) | instskip(NEXT) | instid1(SALU_CYCLE_1)
	s_and_b32 s2, s2, s3
	s_and_saveexec_b32 s3, s2
	s_cbranch_execz .LBB1_2
; %bb.1:
	s_load_b256 s[4:11], s[0:1], 0x20
	s_sub_co_i32 s2, s23, s22
	s_load_b256 s[12:19], s[0:1], 0x40
	s_not_b32 s3, s2
	v_dual_add_nc_u32 v81, 1, v124 :: v_dual_ashrrev_i32 v125, 31, v124
	v_dual_add_nc_u32 v47, -2, v124 :: v_dual_add_nc_u32 v77, -1, v124
	v_subrev_nc_u32_e32 v78, s22, v124
	s_load_b128 s[24:27], s[0:1], 0x98
	s_wait_kmcnt 0x0
	s_sub_co_i32 s20, s5, s4
	s_add_co_i32 s5, s2, 1
	s_add_co_i32 s2, s20, 1
	v_mul_lo_u32 v6, v109, s5
	s_mul_i32 s2, s2, s5
	s_mul_i32 s3, s4, s3
	v_mul_lo_u32 v58, v5, s2
	s_mul_i32 s20, s2, s6
	s_sub_co_i32 s6, s7, s6
	s_add_co_i32 s7, s22, s20
	s_add_co_i32 s6, s6, 1
	s_sub_co_i32 s3, s3, s7
	s_mul_i32 s20, s6, s2
	s_delay_alu instid0(VALU_DEP_2) | instskip(SKIP_2) | instid1(VALU_DEP_2)
	v_dual_add_nc_u32 v0, s3, v124 :: v_dual_ashrrev_i32 v7, 31, v6
	s_sub_co_i32 s6, s3, s20
	s_lshl_b32 s23, s20, 1
	v_add3_u32 v95, v58, v6, s3
	v_add_nc_u32_e32 v1, s6, v124
	s_ashr_i32 s7, s6, 31
	v_ashrrev_i32_e32 v59, 31, v58
	v_add_nc_u64_e32 v[8:9], s[6:7], v[124:125]
	v_dual_add_nc_u32 v4, v95, v81 :: v_dual_add_nc_u32 v115, v6, v0
	v_dual_add_nc_u32 v48, v6, v1 :: v_dual_add_nc_u32 v11, v95, v47
	s_ashr_i32 s21, s20, 31
	scratch_store_b32 off, v1, off offset:136 ; 4-byte Folded Spill
	v_dual_add_nc_u32 v2, v115, v58 :: v_dual_add_nc_u32 v10, v48, v58
	scratch_store_b32 off, v0, off offset:104 ; 4-byte Folded Spill
	v_add_nc_u64_e32 v[12:13], v[8:9], v[6:7]
	scratch_store_b32 off, v2, off offset:88 ; 4-byte Folded Spill
	s_clause 0x3
	global_load_b64 v[0:1], v4, s[14:15] scale_offset
	global_load_b64 v[50:51], v2, s[14:15] scale_offset
	;; [unrolled: 1-line block ×4, first 2 shown]
	s_wait_xcnt 0x0
	v_add_nc_u32_e32 v4, v95, v77
	global_load_b64 v[40:41], v11, s[16:17] scale_offset
	v_dual_add_nc_u32 v14, s20, v10 :: v_dual_add_nc_u32 v10, s23, v10
	global_load_b64 v[44:45], v4, s[16:17] scale_offset
	s_clause 0x1
	global_load_b64 v[8:9], v11, s[14:15] scale_offset
	global_load_b64 v[6:7], v4, s[14:15] scale_offset
	v_dual_mov_b32 v94, v14 :: v_dual_ashrrev_i32 v15, 31, v14
	s_wait_xcnt 0x1
	v_dual_add_nc_u32 v86, s20, v10 :: v_dual_ashrrev_i32 v11, 31, v10
	s_delay_alu instid0(VALU_DEP_2) | instskip(NEXT) | instid1(VALU_DEP_2)
	v_lshlrev_b64_e32 v[16:17], 3, v[14:15]
	v_dual_add_nc_u32 v18, s20, v86 :: v_dual_ashrrev_i32 v87, 31, v86
	s_delay_alu instid0(VALU_DEP_3) | instskip(SKIP_2) | instid1(VALU_DEP_4)
	v_lshl_add_u64 v[42:43], v[10:11], 3, s[18:19]
	v_add_nc_u32_e32 v11, -2, v5
	v_add_nc_u64_e32 v[12:13], v[12:13], v[58:59]
	v_ashrrev_i32_e32 v19, 31, v18
	v_add_nc_u64_e32 v[14:15], s[18:19], v[16:17]
	v_lshl_add_u64 v[24:25], v[86:87], 3, s[18:19]
	v_mul_lo_u32 v46, v11, s2
	v_add_nc_u64_e32 v[12:13], s[20:21], v[12:13]
	s_delay_alu instid0(VALU_DEP_1) | instskip(NEXT) | instid1(VALU_DEP_3)
	v_lshl_add_u64 v[12:13], v[12:13], 3, s[18:19]
	v_add_nc_u32_e32 v11, s2, v46
	s_delay_alu instid0(VALU_DEP_1) | instskip(SKIP_2) | instid1(VALU_DEP_3)
	v_lshl_add_u32 v52, s2, 1, v11
	v_dual_ashrrev_i32 v79, 31, v78 :: v_dual_mov_b32 v53, v11
	v_add_nc_u32_e32 v11, v46, v48
	v_add_nc_u32_e32 v108, s2, v52
	s_mov_b64 s[2:3], 0x3fe5555555555555
	s_delay_alu instid0(VALU_DEP_2) | instskip(NEXT) | instid1(VALU_DEP_1)
	v_add_nc_u32_e32 v126, s23, v11
	v_ashrrev_i32_e32 v127, 31, v126
	s_wait_loadcnt 0x5
	s_wait_xcnt 0x0
	v_fma_f64 v[4:5], 2.0, v[50:51], v[2:3]
	s_wait_loadcnt 0x4
	v_fma_f64 v[0:1], 2.0, v[0:1], v[56:57]
	v_lshl_add_u64 v[32:33], v[18:19], 3, s[18:19]
	s_clause 0x2
	scratch_store_b64 off, v[94:95], off
	scratch_store_b64 off, v[16:17], off offset:244
	scratch_store_b64 off, v[18:19], off offset:8
	s_clause 0x7
	global_load_b128 v[16:19], v[24:25], off
	global_load_b128 v[28:31], v[14:15], off
	;; [unrolled: 1-line block ×4, first 2 shown]
	global_load_b128 v[36:39], v[24:25], off offset:-16
	; meta instruction
	global_load_b128 v[24:27], v[12:13], off offset:-16
	global_load_b128 v[32:35], v[32:33], off offset:-16
	;; [unrolled: 1-line block ×3, first 2 shown]
	s_wait_loadcnt 0x8
	v_fma_f64 v[6:7], 2.0, v[6:7], v[44:45]
	s_wait_xcnt 0x0
	v_subrev_nc_u32_e32 v42, s4, v109
	v_fma_f64 v[8:9], 2.0, v[8:9], v[40:41]
	v_add_f64_e32 v[2:3], v[50:51], v[2:3]
	scratch_store_b32 off, v52, off offset:352 ; 4-byte Folded Spill
	s_wait_loadcnt 0x4
	v_dual_mul_f64 v[2:3], v[2:3], v[20:21] :: v_dual_ashrrev_i32 v43, 31, v42
	s_wait_loadcnt 0x3
	v_mul_f64_e32 v[36:37], v[40:41], v[36:37]
	v_mul_f64_e32 v[38:39], v[44:45], v[38:39]
	s_wait_loadcnt 0x2
	v_mul_f64_e32 v[68:69], v[40:41], v[24:25]
	s_wait_loadcnt 0x1
	;; [unrolled: 2-line block ×3, first 2 shown]
	v_dual_mul_f64 v[14:15], v[6:7], v[14:15] :: v_dual_add_nc_u32 v40, v108, v48
	v_mul_f64_e32 v[18:19], v[56:57], v[18:19]
	v_mul_f64_e32 v[54:55], v[50:51], v[28:29]
	;; [unrolled: 1-line block ×3, first 2 shown]
	s_delay_alu instid0(VALU_DEP_4)
	v_dual_mul_f64 v[34:35], v[44:45], v[34:35] :: v_dual_add_nc_u32 v44, s20, v40
	v_mul_f64_e32 v[66:67], v[0:1], v[30:31]
	v_mul_f64_e32 v[0:1], v[0:1], v[22:23]
	v_add_nc_u32_e32 v22, s20, v11
	v_mul_f64_e32 v[60:61], v[56:57], v[30:31]
	v_mul_f64_e32 v[56:57], v[56:57], v[64:65]
	v_dual_mul_f64 v[6:7], v[6:7], v[26:27] :: v_dual_mov_b32 v76, v44
	s_delay_alu instid0(VALU_DEP_4) | instskip(SKIP_1) | instid1(VALU_DEP_2)
	v_dual_mov_b32 v80, v22 :: v_dual_ashrrev_i32 v23, 31, v22
	v_dual_ashrrev_i32 v45, 31, v44 :: v_dual_mov_b32 v41, v115
	v_lshl_add_u64 v[82:83], v[22:23], 3, s[12:13]
	global_load_b128 v[110:113], v[82:83], off offset:-16
	v_mul_f64_e32 v[18:19], v[30:31], v[18:19]
	scratch_store_b32 off, v108, off offset:628 ; 4-byte Folded Spill
	v_mul_f64_e32 v[96:97], v[30:31], v[66:67]
	v_mul_f64_e32 v[0:1], v[30:31], v[0:1]
	scratch_store_b64 off, v[80:81], off offset:336 ; 8-byte Folded Spill
	v_mul_f64_e32 v[22:23], v[30:31], v[60:61]
	scratch_store_b64 off, v[18:19], off offset:388 ; 8-byte Folded Spill
	s_wait_xcnt 0x0
	v_mul_f64_e32 v[18:19], v[28:29], v[54:55]
	scratch_store_b64 off, v[0:1], off offset:396 ; 8-byte Folded Spill
	s_wait_xcnt 0x0
	v_mul_f64_e32 v[0:1], v[26:27], v[70:71]
	v_mul_f64_e32 v[70:71], v[2:3], v[16:17]
	scratch_store_b64 off, v[18:19], off offset:260 ; 8-byte Folded Spill
	s_wait_xcnt 0x0
	v_mul_f64_e32 v[18:19], v[30:31], v[56:57]
	scratch_store_b64 off, v[50:51], off offset:184 ; 8-byte Folded Spill
	v_lshl_add_u64 v[56:57], v[44:45], 3, s[12:13]
	v_mul_f64_e32 v[30:31], v[24:25], v[36:37]
	v_mul_f64_e32 v[36:37], v[26:27], v[38:39]
	v_dual_mul_f64 v[38:39], v[26:27], v[14:15] :: v_dual_add_nc_u32 v44, s23, v40
	global_load_b128 v[120:123], v[56:57], off offset:-16
	scratch_store_b64 off, v[56:57], off offset:412 ; 8-byte Folded Spill
	v_ashrrev_i32_e32 v45, 31, v44
	scratch_store_b64 off, v[18:19], off offset:48 ; 8-byte Folded Spill
	s_wait_xcnt 0x0
	v_mul_f64_e32 v[18:19], v[24:25], v[32:33]
	scratch_store_b64 off, v[42:43], off offset:252 ; 8-byte Folded Spill
	s_wait_xcnt 0x0
	v_lshl_add_u64 v[42:43], v[42:43], 3, s[26:27]
	global_load_b128 v[72:75], v[42:43], off
	scratch_store_b64 off, v[18:19], off offset:64 ; 8-byte Folded Spill
	s_wait_xcnt 0x0
	v_mul_f64_e32 v[18:19], v[26:27], v[34:35]
	v_mul_f64_e32 v[26:27], v[26:27], v[6:7]
	scratch_store_b64 off, v[18:19], off offset:16 ; 8-byte Folded Spill
	s_wait_loadcnt 0x0
	v_mul_f64_e32 v[6:7], v[72:73], v[16:17]
	s_delay_alu instid0(VALU_DEP_1) | instskip(SKIP_1) | instid1(VALU_DEP_2)
	v_mul_f64_e32 v[6:7], v[16:17], v[6:7]
	v_lshl_add_u64 v[16:17], v[126:127], 3, s[12:13]
	v_mul_f64_e32 v[14:15], v[72:73], v[6:7]
	v_add_nc_u32_e32 v6, v53, v48
	v_mul_f64_e32 v[64:65], v[4:5], v[28:29]
	v_mul_f64_e32 v[4:5], v[4:5], v[20:21]
	;; [unrolled: 1-line block ×3, first 2 shown]
	v_add_nc_u32_e32 v7, v52, v48
	s_delay_alu instid0(VALU_DEP_1) | instskip(NEXT) | instid1(VALU_DEP_1)
	v_dual_mul_f64 v[8:9], v[8:9], v[24:25] :: v_dual_add_nc_u32 v98, s23, v7
	v_ashrrev_i32_e32 v99, 31, v98
	s_delay_alu instid0(VALU_DEP_1)
	v_lshl_add_u64 v[50:51], v[98:99], 3, s[12:13]
	v_fmac_f64_e32 v[14:15], v[62:63], v[62:63]
	s_clause 0x1
	scratch_store_b64 off, v[42:43], off offset:72
	scratch_store_b32 off, v53, off offset:316
	s_wait_xcnt 0x1
	v_lshl_add_u64 v[42:43], v[78:79], 3, s[24:25]
	v_dual_mul_f64 v[34:35], v[24:25], v[12:13] :: v_dual_add_nc_u32 v12, s20, v6
	v_mul_f64_e32 v[54:55], v[28:29], v[64:65]
	v_mul_f64_e32 v[28:29], v[24:25], v[68:69]
	global_load_b128 v[88:91], v[42:43], off
	v_dual_mul_f64 v[24:25], v[24:25], v[8:9] :: v_dual_add_nc_u32 v8, s20, v7
	v_dual_ashrrev_i32 v13, 31, v12 :: v_dual_mov_b32 v79, v46
	v_mov_b32_e32 v46, v12
	scratch_store_b64 off, v[76:77], off offset:308 ; 8-byte Folded Spill
	v_dual_mov_b32 v114, v8 :: v_dual_ashrrev_i32 v9, 31, v8
	v_lshl_add_u64 v[118:119], v[12:13], 3, s[12:13]
	scratch_store_b64 off, v[46:47], off offset:344 ; 8-byte Folded Spill
	v_mul_f64_e32 v[68:69], v[2:3], v[62:63]
	v_lshl_add_u64 v[116:117], v[8:9], 3, s[12:13]
	v_lshl_add_u64 v[62:63], v[44:45], 3, s[12:13]
	s_clause 0x1
	scratch_store_b64 off, v[114:115], off offset:320
	scratch_store_b64 off, v[14:15], off offset:192
	s_wait_loadcnt 0x0
	v_mul_f64_e32 v[4:5], v[88:89], v[4:5]
	v_mul_f64_e32 v[32:33], v[88:89], v[54:55]
	s_delay_alu instid0(VALU_DEP_2)
	v_mul_f64_e32 v[4:5], v[20:21], v[4:5]
	s_clause 0x2
	scratch_store_b32 off, v79, off offset:240
	scratch_store_b64 off, v[82:83], off offset:404
	scratch_store_b64 off, v[4:5], off offset:96
	s_clause 0x3
	global_load_b128 v[100:103], v[118:119], off offset:-16
	global_load_b128 v[104:107], v[116:117], off offset:-16
	;; [unrolled: 1-line block ×4, first 2 shown]
	s_wait_xcnt 0x4
	v_add_f64_e64 v[4:5], v[120:121], -v[110:111]
	s_delay_alu instid0(VALU_DEP_1) | instskip(SKIP_3) | instid1(VALU_DEP_2)
	v_mul_f64_e32 v[2:3], 0x3fb5555555555555, v[4:5]
	s_wait_loadcnt 0x2
	v_add_f64_e64 v[4:5], v[104:105], -v[100:101]
	v_add_f64_e64 v[64:65], v[106:107], -v[102:103]
	v_fma_f64 v[2:3], v[4:5], s[2:3], -v[2:3]
	v_add_nc_u32_e32 v4, s23, v6
	s_wait_loadcnt 0x0
	s_delay_alu instid0(VALU_DEP_1) | instskip(NEXT) | instid1(VALU_DEP_1)
	v_dual_add_f64 v[6:7], v[12:13], -v[18:19] :: v_dual_ashrrev_i32 v5, 31, v4
	v_lshl_add_u64 v[48:49], v[4:5], 3, s[12:13]
	v_add_nc_u32_e32 v5, s23, v58
	v_mul_f64_e32 v[2:3], v[2:3], v[34:35]
	s_delay_alu instid0(VALU_DEP_4)
	v_mul_f64_e32 v[56:57], 0x3fb5555555555555, v[6:7]
	s_clause 0x1
	global_load_b128 v[82:85], v[48:49], off offset:-16
	global_load_b128 v[6:9], v[50:51], off offset:-16
	s_wait_loadcnt 0x0
	v_add_f64_e64 v[60:61], v[6:7], -v[82:83]
	v_add_f64_e64 v[66:67], v[8:9], -v[84:85]
	s_delay_alu instid0(VALU_DEP_2) | instskip(SKIP_1) | instid1(VALU_DEP_2)
	v_fma_f64 v[56:57], v[60:61], s[2:3], -v[56:57]
	v_add_f64_e64 v[60:61], v[122:123], -v[112:113]
	v_mul_f64_e32 v[30:31], v[56:57], v[30:31]
	s_delay_alu instid0(VALU_DEP_2) | instskip(NEXT) | instid1(VALU_DEP_1)
	v_mul_f64_e32 v[60:61], 0x3fb5555555555555, v[60:61]
	v_fma_f64 v[60:61], v[64:65], s[2:3], -v[60:61]
	v_add_f64_e64 v[64:65], v[14:15], -v[20:21]
	s_delay_alu instid0(VALU_DEP_2) | instskip(NEXT) | instid1(VALU_DEP_2)
	v_mul_f64_e32 v[34:35], v[60:61], v[38:39]
	v_mul_f64_e32 v[64:65], 0x3fb5555555555555, v[64:65]
	;; [unrolled: 1-line block ×3, first 2 shown]
	s_delay_alu instid0(VALU_DEP_2) | instskip(NEXT) | instid1(VALU_DEP_1)
	v_fma_f64 v[64:65], v[66:67], s[2:3], -v[64:65]
	v_mul_f64_e32 v[56:57], v[64:65], v[36:37]
	global_load_b128 v[36:39], v[42:43], off offset:-16
	s_wait_loadcnt 0x0
	v_fmac_f64_e32 v[60:61], v[36:37], v[2:3]
	v_mul_f64_e32 v[2:3], v[72:73], v[56:57]
	s_wait_xcnt 0x0
	v_fma_f64 v[42:43], v[36:37], v[24:25], v[32:33]
	v_mul_f64_e32 v[56:57], v[38:39], v[26:27]
	s_delay_alu instid0(VALU_DEP_3)
	v_fmac_f64_e32 v[2:3], v[38:39], v[34:35]
	scratch_store_b64 off, v[2:3], off offset:24 ; 8-byte Folded Spill
	s_wait_xcnt 0x0
	v_mul_f64_e32 v[2:3], v[90:91], v[96:97]
	scratch_store_b64 off, v[2:3], off offset:208 ; 8-byte Folded Spill
	v_fma_f64 v[92:93], v[36:37], v[24:25], v[2:3]
	s_wait_xcnt 0x0
	v_fma_f64 v[2:3], v[38:39], v[26:27], v[32:33]
	scratch_store_b64 off, v[2:3], off offset:632 ; 8-byte Folded Spill
	s_wait_xcnt 0x0
	v_add_nc_u32_e32 v2, -2, v109
	s_delay_alu instid0(VALU_DEP_1) | instskip(SKIP_1) | instid1(VALU_DEP_1)
	v_mul_lo_u32 v45, v2, s5
	v_add3_u32 v2, v47, s6, v5
	v_dual_add_nc_u32 v59, s5, v45 :: v_dual_add_nc_u32 v11, v2, v45
	s_delay_alu instid0(VALU_DEP_1)
	v_lshl_add_u32 v40, s5, 1, v59
	v_add_nc_u32_e32 v25, v2, v59
	global_load_b64 v[26:27], v11, s[12:13] scale_offset
	s_wait_xcnt 0x0
	v_add_nc_u32_e32 v11, 2, v124
	v_dual_add_nc_u32 v109, s5, v40 :: v_dual_add_nc_u32 v24, v2, v40
	s_delay_alu instid0(VALU_DEP_1)
	v_add_nc_u32_e32 v3, v2, v109
	global_load_b64 v[2:3], v3, s[12:13] scale_offset
	s_wait_loadcnt 0x1
	scratch_store_b64 off, v[26:27], off offset:364 ; 8-byte Folded Spill
	s_wait_loadcnt 0x0
	scratch_store_b64 off, v[2:3], off offset:356 ; 8-byte Folded Spill
	s_wait_xcnt 0x0
	v_add_f64_e64 v[2:3], v[2:3], -v[26:27]
	s_clause 0x1
	global_load_b64 v[26:27], v25, s[12:13] scale_offset
	global_load_b64 v[24:25], v24, s[12:13] scale_offset
	v_mul_f64_e32 v[2:3], 0x3fb5555555555555, v[2:3]
	s_wait_loadcnt 0x1
	scratch_store_b64 off, v[26:27], off offset:648 ; 8-byte Folded Spill
	s_wait_loadcnt 0x0
	scratch_store_b64 off, v[24:25], off offset:504 ; 8-byte Folded Spill
	s_wait_xcnt 0x0
	v_add_f64_e64 v[24:25], v[24:25], -v[26:27]
	s_delay_alu instid0(VALU_DEP_1) | instskip(SKIP_1) | instid1(VALU_DEP_1)
	v_fma_f64 v[2:3], v[24:25], s[2:3], -v[2:3]
	v_add3_u32 v24, v11, s6, v5
	v_dual_add_nc_u32 v11, v95, v11 :: v_dual_add_nc_u32 v25, v24, v45
	v_dual_add_nc_u32 v26, v24, v109 :: v_dual_add_nc_u32 v27, v24, v40
	v_add_nc_u32_e32 v30, v24, v59
	s_clause 0x3
	global_load_b64 v[34:35], v25, s[12:13] scale_offset
	global_load_b64 v[30:31], v30, s[12:13] scale_offset
	;; [unrolled: 1-line block ×4, first 2 shown]
	v_mul_f64_e32 v[2:3], v[28:29], v[2:3]
	s_wait_loadcnt 0x3
	scratch_store_b64 off, v[34:35], off offset:380 ; 8-byte Folded Spill
	s_wait_loadcnt 0x2
	scratch_store_b64 off, v[30:31], off offset:664 ; 8-byte Folded Spill
	;; [unrolled: 2-line block ×4, first 2 shown]
	s_wait_xcnt 0x1
	v_add_f64_e64 v[24:25], v[24:25], -v[34:35]
	s_wait_xcnt 0x0
	v_add_f64_e64 v[26:27], v[26:27], -v[30:31]
	global_load_b64 v[34:35], v11, s[16:17] scale_offset
	global_load_b64 v[30:31], v94, s[18:19] offset:16 scale_offset
	v_mul_f64_e32 v[24:25], 0x3fb5555555555555, v[24:25]
	s_delay_alu instid0(VALU_DEP_1) | instskip(SKIP_2) | instid1(VALU_DEP_1)
	v_fma_f64 v[26:27], v[26:27], s[2:3], -v[24:25]
	s_wait_loadcnt 0x0
	v_mul_f64_e32 v[38:39], v[34:35], v[30:31]
	v_mul_f64_e32 v[38:39], v[30:31], v[38:39]
	s_delay_alu instid0(VALU_DEP_1)
	v_fma_f64 v[2:3], v[38:39], v[26:27], -v[2:3]
	scratch_store_b64 off, v[2:3], off offset:32 ; 8-byte Folded Spill
	s_wait_xcnt 0x0
	v_add3_u32 v2, v77, s6, v5
	v_add3_u32 v5, v81, s6, v5
	s_load_b128 s[4:7], s[0:1], 0x60
	s_wait_xcnt 0x0
	s_mul_i32 s0, s20, 3
	v_add_nc_u32_e32 v3, v2, v109
	v_dual_add_nc_u32 v24, v2, v45 :: v_dual_add_nc_u32 v26, v2, v59
	v_add_nc_u32_e32 v25, v2, v40
	s_clause 0x3
	global_load_b64 v[28:29], v3, s[12:13] scale_offset
	global_load_b64 v[26:27], v26, s[12:13] scale_offset
	global_load_b64 v[2:3], v24, s[12:13] scale_offset
	global_load_b64 v[24:25], v25, s[12:13] scale_offset
	s_wait_loadcnt 0x3
	scratch_store_b64 off, v[28:29], off offset:468 ; 8-byte Folded Spill
	s_wait_loadcnt 0x2
	scratch_store_b64 off, v[26:27], off offset:680 ; 8-byte Folded Spill
	;; [unrolled: 2-line block ×4, first 2 shown]
	s_wait_xcnt 0x1
	v_add_f64_e64 v[2:3], v[28:29], -v[2:3]
	v_add_f64_e64 v[26:27], v[24:25], -v[26:27]
	s_wait_xcnt 0x0
	v_add_nc_u32_e32 v24, v5, v109
	v_dual_add_nc_u32 v25, v5, v45 :: v_dual_add_nc_u32 v28, v5, v40
	v_add_nc_u32_e32 v5, v5, v59
	v_mul_f64_e32 v[2:3], 0x3fb5555555555555, v[2:3]
	s_delay_alu instid0(VALU_DEP_1)
	v_fma_f64 v[2:3], v[26:27], s[2:3], -v[2:3]
	s_clause 0x1
	global_load_b64 v[26:27], v24, s[12:13] scale_offset
	global_load_b64 v[24:25], v25, s[12:13] scale_offset
	v_mul_f64_e32 v[0:1], v[0:1], v[2:3]
	s_wait_loadcnt 0x1
	scratch_store_b64 off, v[26:27], off offset:496 ; 8-byte Folded Spill
	s_wait_loadcnt 0x0
	scratch_store_b64 off, v[24:25], off offset:488 ; 8-byte Folded Spill
	s_clause 0x1
	global_load_b64 v[94:95], v28, s[12:13] scale_offset
	global_load_b64 v[124:125], v5, s[12:13] scale_offset
	s_wait_xcnt 0x3
	v_add_f64_e64 v[26:27], v[26:27], -v[24:25]
	s_delay_alu instid0(VALU_DEP_1) | instskip(SKIP_2) | instid1(VALU_DEP_1)
	v_mul_f64_e32 v[26:27], 0x3fb5555555555555, v[26:27]
	s_wait_loadcnt 0x0
	v_add_f64_e64 v[38:39], v[94:95], -v[124:125]
	v_fma_f64 v[26:27], v[38:39], s[2:3], -v[26:27]
	s_delay_alu instid0(VALU_DEP_1)
	v_fma_f64 v[0:1], v[22:23], v[26:27], -v[0:1]
	scratch_store_b64 off, v[0:1], off offset:40 ; 8-byte Folded Spill
	s_clause 0x1
	global_load_b64 v[22:23], v126, s[12:13] offset:16 scale_offset
	global_load_b128 v[0:3], v[16:17], off
	s_wait_loadcnt 0x1
	s_wait_xcnt 0x0
	v_add_f64_e64 v[16:17], v[22:23], -v[18:19]
	scratch_store_b64 off, v[16:17], off offset:128 ; 8-byte Folded Spill
	s_wait_loadcnt 0x0
	v_add_f64_e64 v[16:17], v[2:3], -v[20:21]
	scratch_store_b64 off, v[16:17], off offset:144 ; 8-byte Folded Spill
	s_clause 0x2
	global_load_b64 v[16:17], v4, s[12:13] offset:16 scale_offset
	global_load_b128 v[18:21], v[48:49], off
	global_load_b64 v[26:27], v98, s[12:13] offset:16 scale_offset
	s_wait_loadcnt 0x2
	v_add_f64_e64 v[24:25], v[16:17], -v[82:83]
	s_wait_loadcnt 0x0
	v_add_f64_e64 v[6:7], v[26:27], -v[6:7]
	v_add_f64_e64 v[16:17], v[26:27], -v[16:17]
	global_load_b64 v[26:27], v10, s[12:13] scale_offset
	scratch_store_b64 off, v[24:25], off offset:112 ; 8-byte Folded Spill
	s_wait_xcnt 0x0
	v_add_f64_e64 v[24:25], v[20:21], -v[84:85]
	global_load_b128 v[82:85], v[50:51], off
	scratch_store_b64 off, v[6:7], off offset:152 ; 8-byte Folded Spill
	s_wait_loadcnt 0x1
	v_add_f64_e64 v[18:19], v[18:19], -v[26:27]
	v_add_f64_e64 v[0:1], v[0:1], -v[26:27]
	s_wait_loadcnt 0x0
	v_add_f64_e64 v[6:7], v[84:85], -v[8:9]
	scratch_store_b64 off, v[24:25], off offset:120 ; 8-byte Folded Spill
	v_add_f64_e64 v[64:65], v[84:85], -v[20:21]
	s_wait_xcnt 0x0
	v_add_nc_u32_e32 v24, s20, v44
	s_delay_alu instid0(VALU_DEP_1)
	v_ashrrev_i32_e32 v25, 31, v24
	scratch_store_b64 off, v[6:7], off offset:160 ; 8-byte Folded Spill
	s_wait_xcnt 0x0
	v_add_f64_e64 v[6:7], v[82:83], -v[26:27]
	scratch_store_b64 off, v[6:7], off offset:704 ; 8-byte Folded Spill
	global_load_b128 v[6:9], v[62:63], off
	s_wait_loadcnt 0x0
	v_add_f64_e64 v[62:63], v[8:9], -v[2:3]
	v_add_f64_e64 v[2:3], v[6:7], -v[26:27]
	scratch_store_b64 off, v[2:3], off offset:672 ; 8-byte Folded Spill
	s_wait_xcnt 0x0
	v_add_f64_e64 v[2:3], v[8:9], -v[14:15]
	scratch_store_b64 off, v[2:3], off offset:168 ; 8-byte Folded Spill
	global_load_b64 v[2:3], v44, s[12:13] offset:16 scale_offset
	s_wait_loadcnt 0x0
	v_add_f64_e64 v[6:7], v[2:3], -v[12:13]
	v_dual_add_f64 v[2:3], v[2:3], -v[22:23] :: v_dual_add_nc_u32 v22, s20, v4
	s_delay_alu instid0(VALU_DEP_1)
	v_ashrrev_i32_e32 v23, 31, v22
	scratch_store_b64 off, v[6:7], off offset:176 ; 8-byte Folded Spill
	s_clause 0x3
	global_load_b64 v[82:83], v80, s[12:13] offset:16 scale_offset
	global_load_b64 v[84:85], v76, s[12:13] offset:16 scale_offset
	;; [unrolled: 1-line block ×4, first 2 shown]
	v_mul_f64_e32 v[2:3], 0x3fb5555555555555, v[2:3]
	s_wait_xcnt 0x0
	v_add_nc_u32_e32 v114, s20, v98
	s_delay_alu instid0(VALU_DEP_1) | instskip(NEXT) | instid1(VALU_DEP_3)
	v_ashrrev_i32_e32 v115, 31, v114
	v_fma_f64 v[2:3], v[16:17], s[2:3], -v[2:3]
	s_wait_loadcnt 0x2
	v_add_f64_e64 v[6:7], v[84:85], -v[82:83]
	s_wait_loadcnt 0x0
	v_add_f64_e64 v[8:9], v[80:81], -v[76:77]
	s_delay_alu instid0(VALU_DEP_2) | instskip(NEXT) | instid1(VALU_DEP_1)
	v_mul_f64_e32 v[6:7], 0x3fb5555555555555, v[6:7]
	v_fma_f64 v[6:7], v[8:9], s[2:3], -v[6:7]
	global_load_b64 v[8:9], v10, s[18:19] offset:16 scale_offset
	global_load_b64 v[10:11], v11, s[14:15] scale_offset
	s_wait_loadcnt 0x0
	v_fma_f64 v[10:11], 2.0, v[10:11], v[34:35]
	s_delay_alu instid0(VALU_DEP_1) | instskip(SKIP_1) | instid1(VALU_DEP_2)
	v_mul_f64_e32 v[8:9], v[10:11], v[8:9]
	v_mul_f64_e32 v[10:11], v[10:11], v[30:31]
	;; [unrolled: 1-line block ×3, first 2 shown]
	s_delay_alu instid0(VALU_DEP_2) | instskip(NEXT) | instid1(VALU_DEP_2)
	v_mul_f64_e32 v[10:11], v[30:31], v[10:11]
	v_mul_f64_e32 v[6:7], v[6:7], v[8:9]
	global_load_b64 v[8:9], v86, s[18:19] offset:16 scale_offset
	s_wait_loadcnt 0x0
	v_mul_f64_e32 v[8:9], v[34:35], v[8:9]
	s_delay_alu instid0(VALU_DEP_1) | instskip(NEXT) | instid1(VALU_DEP_1)
	v_mul_f64_e32 v[8:9], v[30:31], v[8:9]
	v_mul_f64_e32 v[2:3], v[2:3], v[8:9]
	global_load_b64 v[8:9], v78, s[24:25] offset:16 scale_offset
	v_dual_mul_f64 v[36:37], v[72:73], v[2:3] :: v_dual_add_nc_u32 v2, v79, v41
	v_fma_f64 v[12:13], v[90:91], v[96:97], v[32:33]
	v_fmamk_f64 v[96:97], v[42:43], 0xbfe80000, v[56:57]
	s_clause 0x1
	global_load_b64 v[14:15], v2, s[14:15] scale_offset
	global_load_b64 v[2:3], v2, s[16:17] scale_offset
	s_wait_loadcnt 0x2
	v_fmac_f64_e32 v[32:33], v[8:9], v[10:11]
	v_fmac_f64_e32 v[56:57], v[8:9], v[10:11]
	;; [unrolled: 1-line block ×3, first 2 shown]
	s_clause 0x1
	global_load_b64 v[8:9], v126, s[18:19] scale_offset
	global_load_b64 v[10:11], v4, s[18:19] scale_offset
	v_add_nc_u32_e32 v6, s20, v126
	s_delay_alu instid0(VALU_DEP_1)
	v_ashrrev_i32_e32 v7, 31, v6
	s_wait_loadcnt 0x3
	s_clause 0x1
	scratch_store_b64 off, v[14:15], off offset:568
	scratch_store_b64 off, v[12:13], off offset:696
	s_wait_loadcnt 0x2
	scratch_store_b64 off, v[2:3], off offset:576 ; 8-byte Folded Spill
	s_wait_xcnt 0x0
	v_add_f64_e32 v[2:3], v[14:15], v[2:3]
	global_load_b64 v[12:13], v98, s[18:19] scale_offset
	s_wait_loadcnt 0x2
	v_mul_f64_e32 v[4:5], v[2:3], v[8:9]
	v_add_nc_u32_e32 v2, v53, v41
	s_clause 0x1
	global_load_b64 v[14:15], v2, s[14:15] scale_offset
	global_load_b64 v[2:3], v2, s[16:17] scale_offset
	s_wait_loadcnt 0x1
	s_clause 0x2
	scratch_store_b64 off, v[14:15], off offset:544
	scratch_store_b64 off, v[8:9], off offset:584
	scratch_store_b64 off, v[10:11], off offset:560
	s_wait_loadcnt 0x0
	scratch_store_b64 off, v[2:3], off offset:552 ; 8-byte Folded Spill
	s_wait_xcnt 0x0
	v_add_f64_e32 v[2:3], v[14:15], v[2:3]
	s_delay_alu instid0(VALU_DEP_1)
	v_dual_mul_f64 v[8:9], v[2:3], v[10:11] :: v_dual_add_nc_u32 v2, v52, v41
	s_clause 0x1
	global_load_b64 v[14:15], v2, s[14:15] scale_offset
	global_load_b64 v[2:3], v2, s[16:17] scale_offset
	s_clause 0x1
	scratch_store_b64 off, v[12:13], off offset:520
	scratch_store_b64 off, v[32:33], off offset:536
	s_wait_loadcnt 0x1
	scratch_store_b64 off, v[14:15], off offset:512 ; 8-byte Folded Spill
	s_wait_loadcnt 0x0
	scratch_store_b64 off, v[2:3], off offset:528 ; 8-byte Folded Spill
	s_wait_xcnt 0x0
	v_add_f64_e32 v[2:3], v[14:15], v[2:3]
	s_delay_alu instid0(VALU_DEP_1)
	v_mul_f64_e32 v[42:43], v[2:3], v[12:13]
	s_clause 0x2
	global_load_b64 v[66:67], v114, s[18:19] scale_offset
	global_load_b64 v[12:13], v22, s[18:19] scale_offset
	;; [unrolled: 1-line block ×3, first 2 shown]
	s_wait_loadcnt 0x2
	v_mul_f64_e32 v[52:53], v[42:43], v[66:67]
	s_wait_loadcnt 0x1
	v_fma_f64 v[2:3], v[8:9], v[12:13], v[70:71]
	v_mul_f64_e32 v[28:29], v[8:9], v[12:13]
	scratch_store_b64 off, v[12:13], off offset:592 ; 8-byte Folded Spill
	s_wait_xcnt 0x0
	v_lshl_add_u64 v[12:13], v[22:23], 3, s[12:13]
	s_wait_loadcnt 0x0
	v_fma_f64 v[10:11], v[4:5], v[14:15], v[52:53]
	s_delay_alu instid0(VALU_DEP_1) | instskip(SKIP_1) | instid1(VALU_DEP_2)
	v_fmac_f64_e32 v[10:11], 0x40080000, v[2:3]
	v_fma_f64 v[2:3], v[4:5], v[14:15], v[70:71]
	v_mul_f64_e32 v[126:127], v[10:11], v[18:19]
	s_delay_alu instid0(VALU_DEP_2)
	v_fmamk_f64 v[2:3], v[2:3], 0xbfe80000, v[28:29]
	global_load_b64 v[18:19], v86, s[12:13] scale_offset
	v_fmac_f64_e32 v[126:127], v[2:3], v[0:1]
	v_add_nc_u32_e32 v0, s20, v114
	v_add_nc_u32_e32 v1, s20, v6
	s_clause 0x1
	global_load_b64 v[54:55], v0, s[18:19] scale_offset
	global_load_b64 v[16:17], v1, s[18:19] scale_offset
	s_wait_xcnt 0x1
	v_add_nc_u32_e32 v0, s20, v22
	scratch_store_b64 off, v[14:15], off offset:600 ; 8-byte Folded Spill
	global_load_b64 v[14:15], v0, s[18:19] scale_offset
	s_wait_loadcnt 0x2
	v_mul_f64_e32 v[46:47], v[42:43], v[54:55]
	s_wait_loadcnt 0x1
	scratch_store_b64 off, v[16:17], off offset:620 ; 8-byte Folded Spill
	s_wait_loadcnt 0x0
	s_wait_xcnt 0x1
	v_fma_f64 v[0:1], v[8:9], v[14:15], v[68:69]
	v_mul_f64_e32 v[86:87], v[8:9], v[14:15]
	scratch_store_b64 off, v[14:15], off offset:608 ; 8-byte Folded Spill
	v_fma_f64 v[10:11], v[4:5], v[16:17], v[46:47]
	s_delay_alu instid0(VALU_DEP_1) | instskip(SKIP_3) | instid1(VALU_DEP_1)
	v_fmac_f64_e32 v[10:11], 0x40080000, v[0:1]
	global_load_b128 v[0:3], v[12:13], off
	s_wait_loadcnt 0x0
	v_add_f64_e64 v[0:1], v[0:1], -v[18:19]
	v_mul_f64_e32 v[10:11], v[10:11], v[0:1]
	v_fma_f64 v[0:1], v[4:5], v[16:17], v[68:69]
	v_lshl_add_u64 v[4:5], v[6:7], 3, s[12:13]
	global_load_b128 v[48:51], v[4:5], off
	v_fmamk_f64 v[0:1], v[0:1], 0xbfe80000, v[86:87]
	s_wait_loadcnt 0x0
	v_add_f64_e64 v[8:9], v[48:49], -v[18:19]
	v_lshl_add_u64 v[48:49], v[114:115], 3, s[12:13]
	global_load_b128 v[14:17], v[48:49], off
	v_fmac_f64_e32 v[10:11], v[0:1], v[8:9]
	scratch_load_b64 v[0:1], off, off offset:8 th:TH_LOAD_LU ; 8-byte Folded Reload
	v_mov_b64_e32 v[98:99], v[10:11]
	global_load_b128 v[8:11], v[12:13], off offset:-16
	s_wait_xcnt 0x0
	v_lshl_add_u64 v[12:13], v[24:25], 3, s[12:13]
	s_wait_loadcnt 0x2
	v_add_f64_e64 v[38:39], v[16:17], -v[2:3]
	s_wait_loadcnt 0x1
	global_load_b64 v[0:1], v0, s[18:19] offset:16 scale_offset
	s_wait_loadcnt 0x0
	v_mul_f64_e32 v[32:33], v[34:35], v[0:1]
	s_wait_xcnt 0x0
	v_add_f64_e64 v[0:1], v[2:3], -v[10:11]
	global_load_b64 v[34:35], v6, s[12:13] offset:16 scale_offset
	scratch_store_b64 off, v[0:1], off offset:200 ; 8-byte Folded Spill
	global_load_b128 v[0:3], v[4:5], off offset:-16
	s_wait_loadcnt 0x0
	v_add_f64_e64 v[4:5], v[34:35], -v[0:1]
	scratch_store_b64 off, v[4:5], off offset:268 ; 8-byte Folded Spill
	s_wait_xcnt 0x0
	v_add_f64_e64 v[4:5], v[50:51], -v[2:3]
	scratch_store_b64 off, v[4:5], off offset:276 ; 8-byte Folded Spill
	global_load_b128 v[4:7], v[12:13], off offset:-16
	s_wait_loadcnt 0x0
	v_add_f64_e64 v[26:27], v[4:5], -v[0:1]
	v_add_f64_e64 v[0:1], v[6:7], -v[2:3]
	scratch_store_b64 off, v[0:1], off offset:284 ; 8-byte Folded Spill
	global_load_b64 v[0:1], v24, s[12:13] offset:16 scale_offset
	s_wait_loadcnt 0x0
	v_add_f64_e64 v[20:21], v[0:1], -v[34:35]
	v_add_f64_e64 v[0:1], v[0:1], -v[4:5]
	;; [unrolled: 1-line block ×3, first 2 shown]
	scratch_store_b64 off, v[0:1], off offset:292 ; 8-byte Folded Spill
	global_load_b128 v[0:3], v[12:13], off
	s_wait_loadcnt 0x0
	v_add_f64_e64 v[4:5], v[2:3], -v[6:7]
	v_add_f64_e64 v[50:51], v[2:3], -v[50:51]
	;; [unrolled: 1-line block ×3, first 2 shown]
	global_load_b128 v[0:3], v[48:49], off offset:-16
	scratch_store_b64 off, v[4:5], off offset:300 ; 8-byte Folded Spill
	s_wait_loadcnt 0x0
	v_add_f64_e64 v[4:5], v[16:17], -v[2:3]
	v_add_f64_e64 v[2:3], v[2:3], -v[10:11]
	s_clause 0x1
	scratch_store_b64 off, v[4:5], off offset:224
	scratch_store_b64 off, v[2:3], off offset:328
	s_clause 0x1
	global_load_b64 v[4:5], v22, s[12:13] offset:16 scale_offset
	global_load_b64 v[2:3], v114, s[12:13] offset:16 scale_offset
	s_wait_loadcnt 0x1
	v_add_f64_e64 v[6:7], v[4:5], -v[8:9]
	scratch_store_b64 off, v[6:7], off offset:216 ; 8-byte Folded Spill
	s_wait_xcnt 0x0
	v_add_f64_e64 v[6:7], v[0:1], -v[8:9]
	s_wait_loadcnt 0x0
	v_add_f64_e64 v[0:1], v[2:3], -v[0:1]
	scratch_store_b64 off, v[0:1], off offset:232 ; 8-byte Folded Spill
	s_wait_xcnt 0x0
	v_add_f64_e64 v[0:1], v[2:3], -v[4:5]
	v_mul_f64_e32 v[4:5], 0x3fb5555555555555, v[20:21]
	v_mul_f64_e32 v[2:3], v[30:31], v[32:33]
	s_delay_alu instid0(VALU_DEP_2) | instskip(NEXT) | instid1(VALU_DEP_1)
	v_fma_f64 v[0:1], v[0:1], s[2:3], -v[4:5]
	v_fmac_f64_e32 v[36:37], v[0:1], v[2:3]
	scratch_load_b64 v[2:3], off, off offset:64 th:TH_LOAD_LU ; 8-byte Folded Reload
	v_mul_f64_e32 v[0:1], 0x3fb5555555555555, v[26:27]
	s_delay_alu instid0(VALU_DEP_1) | instskip(SKIP_1) | instid1(VALU_DEP_1)
	v_fma_f64 v[0:1], v[6:7], s[2:3], -v[0:1]
	s_wait_loadcnt 0x0
	v_fmac_f64_e32 v[60:61], v[0:1], v[2:3]
	s_clause 0x1
	scratch_load_b64 v[2:3], off, off offset:404 th:TH_LOAD_LU
	scratch_store_b64 off, v[36:37], off offset:56
	v_mul_f64_e32 v[0:1], 0x3fb5555555555555, v[62:63]
	scratch_store_b64 off, v[60:61], off offset:64 ; 8-byte Folded Spill
	s_wait_loadcnt 0x0
	global_load_b128 v[12:15], v[2:3], off
	scratch_load_b64 v[2:3], off, off offset:412 th:TH_LOAD_LU ; 8-byte Folded Reload
	v_fma_f64 v[0:1], v[64:65], s[2:3], -v[0:1]
	s_wait_loadcnt 0x0
	s_clause 0x2
	global_load_b128 v[16:19], v[2:3], off
	global_load_b128 v[8:11], v[118:119], off
	;; [unrolled: 1-line block ×3, first 2 shown]
	s_clause 0x1
	scratch_load_b64 v[22:23], off, off offset:396 th:TH_LOAD_LU
	scratch_load_b32 v32, off, off offset:104 th:TH_LOAD_LU
	s_wait_loadcnt 0x4
	s_wait_xcnt 0x4
	v_add_f64_e64 v[2:3], v[18:19], -v[14:15]
	s_wait_loadcnt 0x2
	v_add_f64_e64 v[20:21], v[6:7], -v[10:11]
	v_add_f64_e64 v[102:103], v[10:11], -v[102:103]
	s_delay_alu instid0(VALU_DEP_3) | instskip(NEXT) | instid1(VALU_DEP_1)
	v_mul_f64_e32 v[2:3], 0x3fb5555555555555, v[2:3]
	v_fma_f64 v[2:3], v[20:21], s[2:3], -v[2:3]
	scratch_load_b64 v[20:21], off, off offset:388 th:TH_LOAD_LU ; 8-byte Folded Reload
	s_wait_loadcnt 0x2
	v_mul_f64_e32 v[2:3], v[2:3], v[22:23]
	s_wait_loadcnt 0x0
	v_mul_f64_e32 v[0:1], v[0:1], v[20:21]
	v_mul_f64_e32 v[20:21], 0x3fb5555555555555, v[50:51]
	s_delay_alu instid0(VALU_DEP_2) | instskip(NEXT) | instid1(VALU_DEP_2)
	v_mul_f64_e32 v[0:1], v[72:73], v[0:1]
	v_fma_f64 v[20:21], v[38:39], s[2:3], -v[20:21]
	s_delay_alu instid0(VALU_DEP_2)
	v_fmac_f64_e32 v[0:1], v[90:91], v[2:3]
	scratch_load_b64 v[2:3], off, off offset:48 th:TH_LOAD_LU ; 8-byte Folded Reload
	s_wait_loadcnt 0x0
	v_fmac_f64_e32 v[0:1], v[20:21], v[2:3]
	scratch_load_b32 v21, off, off offset:136 th:TH_LOAD_LU ; 4-byte Folded Reload
	v_add3_u32 v2, v58, v59, v32
	v_add3_u32 v3, v58, v40, v32
	s_wait_loadcnt 0x0
	v_dual_add_nc_u32 v90, v45, v21 :: v_dual_add_nc_u32 v20, v59, v21
	scratch_store_b64 off, v[0:1], off offset:48 ; 8-byte Folded Spill
	s_wait_xcnt 0x0
	v_add3_u32 v0, v58, v45, v32
	v_dual_add_nc_u32 v91, v40, v21 :: v_dual_add_nc_u32 v1, v90, v58
	scratch_store_b32 off, v20, off offset:616 ; 4-byte Folded Spill
	v_dual_mov_b32 v33, v21 :: v_dual_add_nc_u32 v25, s20, v1
	global_load_b64 v[22:23], v25, s[18:19] scale_offset
	scratch_store_b32 off, v1, off offset:396 ; 4-byte Folded Spill
	global_load_b64 v[0:1], v0, s[14:15] scale_offset
	s_wait_loadcnt 0x1
	scratch_store_b64 off, v[22:23], off offset:412 ; 8-byte Folded Spill
	s_wait_loadcnt 0x0
	scratch_store_b64 off, v[0:1], off offset:420 ; 8-byte Folded Spill
	s_wait_xcnt 0x0
	v_mul_f64_e32 v[0:1], v[0:1], v[22:23]
	s_delay_alu instid0(VALU_DEP_1) | instskip(NEXT) | instid1(VALU_DEP_1)
	v_dual_mul_f64 v[36:37], v[22:23], v[0:1] :: v_dual_add_nc_u32 v0, v20, v58
	v_add_nc_u32_e32 v26, s20, v0
	global_load_b64 v[20:21], v26, s[18:19] scale_offset
	scratch_store_b32 off, v0, off offset:404 ; 4-byte Folded Spill
	global_load_b64 v[0:1], v2, s[14:15] scale_offset
	scratch_store_b64 off, v[36:37], off offset:640 ; 8-byte Folded Spill
	s_wait_loadcnt 0x1
	scratch_store_b64 off, v[20:21], off offset:428 ; 8-byte Folded Spill
	s_wait_loadcnt 0x0
	scratch_store_b64 off, v[0:1], off offset:436 ; 8-byte Folded Spill
	s_wait_xcnt 0x0
	v_mul_f64_e32 v[0:1], v[0:1], v[20:21]
	s_delay_alu instid0(VALU_DEP_1) | instskip(NEXT) | instid1(VALU_DEP_1)
	v_dual_mul_f64 v[22:23], v[20:21], v[0:1] :: v_dual_add_nc_u32 v0, v91, v58
	v_add_nc_u32_e32 v59, s20, v0
	scratch_store_b32 off, v0, off offset:476 ; 4-byte Folded Spill
	global_load_b64 v[0:1], v3, s[14:15] scale_offset
	global_load_b64 v[2:3], v59, s[18:19] scale_offset
	s_wait_loadcnt 0x1
	scratch_store_b64 off, v[0:1], off offset:480 ; 8-byte Folded Spill
	s_wait_loadcnt 0x0
	v_mul_f64_e32 v[0:1], v[0:1], v[2:3]
	s_delay_alu instid0(VALU_DEP_1)
	v_mul_f64_e32 v[38:39], v[2:3], v[0:1]
	scratch_load_b64 v[0:1], off, off offset:260 th:TH_LOAD_LU ; 8-byte Folded Reload
	v_mul_f64_e32 v[48:49], v[74:75], v[38:39]
	s_wait_loadcnt 0x0
	v_mul_f64_e32 v[20:21], v[72:73], v[0:1]
	scratch_load_b64 v[0:1], off, off offset:72 th:TH_LOAD_LU ; 8-byte Folded Reload
	s_wait_loadcnt 0x0
	global_load_b128 v[62:65], v[0:1], off offset:-16
	scratch_store_b64 off, v[2:3], off offset:8 ; 8-byte Folded Spill
	s_wait_loadcnt 0x0
	scratch_store_b128 off, v[62:65], off offset:72 ; 16-byte Folded Spill
	v_fma_f64 v[30:31], v[62:63], v[36:37], v[48:49]
	s_wait_xcnt 0x2
	v_fma_f64 v[0:1], v[64:65], v[22:23], v[20:21]
	s_delay_alu instid0(VALU_DEP_1)
	v_fmac_f64_e32 v[30:31], 0x40080000, v[0:1]
	scratch_load_b64 v[0:1], off, off offset:244 th:TH_LOAD_LU ; 8-byte Folded Reload
	s_wait_loadcnt 0x0
	v_add_nc_u64_e32 v[50:51], s[12:13], v[0:1]
	s_clause 0x1
	global_load_b64 v[60:61], v26, s[12:13] scale_offset
	global_load_b128 v[0:3], v[50:51], off
	s_wait_xcnt 0x1
	v_mul_f64_e32 v[26:27], v[64:65], v[22:23]
	global_load_b128 v[116:119], v[50:51], off offset:-16
	s_wait_loadcnt 0x1
	v_add_f64_e64 v[60:61], v[60:61], -v[0:1]
	v_add_f64_e64 v[8:9], v[8:9], -v[0:1]
	s_wait_loadcnt 0x0
	v_add_f64_e64 v[50:51], v[116:117], -v[0:1]
	s_delay_alu instid0(VALU_DEP_3) | instskip(SKIP_4) | instid1(VALU_DEP_2)
	v_mul_f64_e32 v[114:115], v[30:31], v[60:61]
	global_load_b64 v[30:31], v25, s[12:13] scale_offset
	v_fma_f64 v[60:61], v[62:63], v[36:37], v[20:21]
	s_wait_xcnt 0x0
	v_add_nc_u32_e32 v25, v108, v41
	v_fmamk_f64 v[60:61], v[60:61], 0xbfe80000, v[26:27]
	s_wait_loadcnt 0x0
	v_add_f64_e64 v[30:31], v[30:31], -v[0:1]
	s_delay_alu instid0(VALU_DEP_1) | instskip(SKIP_4) | instid1(VALU_DEP_1)
	v_fmac_f64_e32 v[114:115], v[60:61], v[30:31]
	scratch_load_b64 v[30:31], off, off offset:632 th:TH_LOAD_LU ; 8-byte Folded Reload
	s_wait_loadcnt 0x0
	v_fmac_f64_e32 v[92:93], 0x40080000, v[30:31]
	v_add_f64_e64 v[30:31], v[118:119], -v[0:1]
	v_mul_f64_e32 v[118:119], v[92:93], v[30:31]
	global_load_b64 v[62:63], v44, s[18:19] scale_offset
	s_clause 0x1
	global_load_b64 v[30:31], v25, s[14:15] scale_offset
	global_load_b64 v[36:37], v25, s[16:17] scale_offset
	v_mov_b64_e32 v[92:93], v[54:55]
	v_fmac_f64_e32 v[118:119], v[96:97], v[50:51]
	global_load_b64 v[50:51], v24, s[18:19] scale_offset
	s_wait_loadcnt 0x2
	scratch_store_b64 off, v[30:31], off offset:632 ; 8-byte Folded Spill
	s_wait_loadcnt 0x1
	s_wait_xcnt 0x0
	v_add_f64_e32 v[30:31], v[30:31], v[36:37]
	v_mov_b64_e32 v[96:97], v[36:37]
	s_delay_alu instid0(VALU_DEP_2) | instskip(SKIP_2) | instid1(VALU_DEP_2)
	v_mul_f64_e32 v[44:45], v[30:31], v[62:63]
	v_fma_f64 v[30:31], v[42:43], v[66:67], v[70:71]
	s_wait_loadcnt 0x0
	v_fmac_f64_e32 v[28:29], v[44:45], v[50:51]
	v_fmac_f64_e32 v[70:71], v[44:45], v[50:51]
	s_delay_alu instid0(VALU_DEP_2)
	v_fmac_f64_e32 v[28:29], 0x40080000, v[30:31]
	scratch_load_b64 v[30:31], off, off offset:704 th:TH_LOAD_LU ; 8-byte Folded Reload
	v_fmac_f64_e32 v[52:53], 0xbfe80000, v[70:71]
	s_wait_loadcnt 0x0
	v_fmac_f64_e32 v[126:127], v[28:29], v[30:31]
	v_dual_fma_f64 v[24:25], v[42:43], v[54:55], v[68:69] :: v_dual_add_nc_u32 v28, s20, v24
	global_load_b64 v[30:31], v28, s[18:19] scale_offset
	s_wait_loadcnt 0x0
	v_fmac_f64_e32 v[86:87], v[44:45], v[30:31]
	v_fmac_f64_e32 v[68:69], v[44:45], v[30:31]
	v_mov_b64_e32 v[44:45], v[96:97]
	s_delay_alu instid0(VALU_DEP_3)
	v_fmac_f64_e32 v[86:87], 0x40080000, v[24:25]
	s_clause 0x1
	scratch_load_b64 v[24:25], off, off offset:648 th:TH_LOAD_LU
	scratch_load_b64 v[28:29], off, off offset:664 th:TH_LOAD_LU
	v_fmac_f64_e32 v[46:47], 0xbfe80000, v[68:69]
	v_fmac_f64_e32 v[98:99], v[86:87], v[34:35]
	v_add_f64_e64 v[86:87], v[82:83], -v[110:111]
	v_add_f64_e64 v[110:111], v[76:77], -v[100:101]
	v_add_f64_e64 v[100:101], v[6:7], -v[106:107]
	v_add_f64_e64 v[6:7], v[18:19], -v[122:123]
	v_fmac_f64_e32 v[98:99], v[46:47], v[78:79]
	s_wait_loadcnt 0x0
	v_add_f64_e64 v[24:25], v[28:29], -v[24:25]
	s_clause 0x3
	scratch_load_b64 v[28:29], off, off offset:504 th:TH_LOAD_LU
	scratch_load_b64 v[34:35], off, off offset:656 th:TH_LOAD_LU
	;; [unrolled: 1-line block ×3, first 2 shown]
	scratch_store_b64 off, v[98:99], off offset:504
	v_mul_f64_e32 v[24:25], 0x3fb5555555555555, v[24:25]
	s_wait_loadcnt 0x1
	v_add_f64_e64 v[28:29], v[34:35], -v[28:29]
	scratch_load_b64 v[34:35], off, off offset:688 th:TH_LOAD_LU ; 8-byte Folded Reload
	s_wait_loadcnt 0x1
	v_add_f64_e64 v[36:37], v[124:125], -v[36:37]
	v_mul_f64_e32 v[28:29], 0x3fb5555555555555, v[28:29]
	s_delay_alu instid0(VALU_DEP_2) | instskip(NEXT) | instid1(VALU_DEP_1)
	v_fma_f64 v[24:25], v[36:37], s[2:3], -v[24:25]
	v_mul_f64_e32 v[22:23], v[22:23], v[24:25]
	scratch_load_b64 v[24:25], off, off offset:252 th:TH_LOAD_LU ; 8-byte Folded Reload
	s_wait_loadcnt 0x1
	v_add_f64_e64 v[34:35], v[94:95], -v[34:35]
	v_add_f64_e64 v[94:95], v[14:15], -v[112:113]
	v_mul_f64_e32 v[14:15], v[88:89], v[72:73]
	s_delay_alu instid0(VALU_DEP_3)
	v_fma_f64 v[28:29], v[34:35], s[2:3], -v[28:29]
	scratch_store_b64 off, v[14:15], off offset:136 ; 8-byte Folded Spill
	v_fma_f64 v[22:23], v[38:39], v[28:29], -v[22:23]
	v_add_nc_u32_e32 v29, v109, v33
	s_wait_loadcnt 0x0
	global_load_b64 v[36:37], v24, s[26:27] offset:16 scale_offset
	scratch_store_b64 off, v[22:23], off offset:388 ; 8-byte Folded Spill
	s_wait_xcnt 0x0
	v_add_nc_u32_e32 v23, v29, v58
	v_add3_u32 v22, v58, v109, v32
	s_delay_alu instid0(VALU_DEP_2)
	v_add_nc_u32_e32 v28, s20, v23
	scratch_store_b32 off, v23, off offset:244 ; 4-byte Folded Spill
	global_load_b64 v[22:23], v22, s[14:15] scale_offset
	global_load_b64 v[34:35], v28, s[18:19] scale_offset
	s_wait_loadcnt 0x2
	v_mov_b64_e32 v[82:83], v[36:37]
	s_wait_loadcnt 0x1
	scratch_store_b64 off, v[22:23], off offset:260 ; 8-byte Folded Spill
	s_wait_loadcnt 0x0
	v_mul_f64_e32 v[22:23], v[22:23], v[34:35]
	s_delay_alu instid0(VALU_DEP_1) | instskip(SKIP_1) | instid1(VALU_DEP_2)
	v_mul_f64_e32 v[24:25], v[34:35], v[22:23]
	v_fma_f64 v[22:23], v[74:75], v[38:39], v[20:21]
	v_fmac_f64_e32 v[26:27], v[36:37], v[24:25]
	v_fmac_f64_e32 v[20:21], v[82:83], v[24:25]
	s_delay_alu instid0(VALU_DEP_2)
	v_fmac_f64_e32 v[26:27], 0x40080000, v[22:23]
	global_load_b64 v[22:23], v59, s[12:13] scale_offset
	s_wait_xcnt 0x0
	v_add_f64_e64 v[58:59], v[16:17], -v[0:1]
	v_fmac_f64_e32 v[48:49], 0xbfe80000, v[20:21]
	s_wait_loadcnt 0x0
	v_add_f64_e64 v[22:23], v[22:23], -v[0:1]
	s_delay_alu instid0(VALU_DEP_1)
	v_fmac_f64_e32 v[114:115], v[26:27], v[22:23]
	v_add_f64_e64 v[26:27], v[80:81], -v[104:105]
	v_add_f64_e64 v[80:81], v[84:85], -v[120:121]
	v_add_f64_e64 v[84:85], v[4:5], -v[0:1]
	scratch_load_b64 v[4:5], off, off       ; 8-byte Folded Reload
	v_add_f64_e64 v[22:23], v[12:13], -v[0:1]
	v_mov_b64_e32 v[122:123], v[74:75]
	v_mov_b64_e32 v[120:121], v[72:73]
	;; [unrolled: 1-line block ×3, first 2 shown]
	s_wait_loadcnt 0x0
	global_load_b64 v[4:5], v4, s[12:13] offset:16 scale_offset
	s_wait_loadcnt 0x0
	v_add_f64_e64 v[16:17], v[4:5], -v[0:1]
	global_load_b64 v[4:5], v28, s[12:13] scale_offset
	s_wait_loadcnt 0x0
	v_add_f64_e64 v[10:11], v[4:5], -v[0:1]
	v_add_f64_e64 v[0:1], v[2:3], -v[0:1]
	scratch_load_b64 v[2:3], off, off offset:696 th:TH_LOAD_LU ; 8-byte Folded Reload
	v_fmac_f64_e32 v[114:115], v[48:49], v[10:11]
	s_wait_loadcnt 0x0
	v_fmac_f64_e32 v[56:57], 0x40080000, v[2:3]
	s_delay_alu instid0(VALU_DEP_1)
	v_fmac_f64_e32 v[118:119], v[56:57], v[0:1]
	scratch_load_b64 v[0:1], off, off offset:672 th:TH_LOAD_LU ; 8-byte Folded Reload
	s_wait_loadcnt 0x0
	v_fmac_f64_e32 v[126:127], v[52:53], v[0:1]
	scratch_load_b32 v0, off, off offset:88 th:TH_LOAD_LU ; 4-byte Folded Reload
	s_wait_loadcnt 0x0
	s_wait_kmcnt 0x0
	global_load_b64 v[12:13], v0, s[4:5] scale_offset
	s_wait_loadcnt 0x0
	v_div_scale_f64 v[0:1], null, v[12:13], v[12:13], v[14:15]
	s_delay_alu instid0(VALU_DEP_1) | instskip(SKIP_1) | instid1(TRANS32_DEP_1)
	v_rcp_f64_e32 v[2:3], v[0:1]
	v_nop
	v_fma_f64 v[4:5], -v[0:1], v[2:3], 1.0
	s_delay_alu instid0(VALU_DEP_1) | instskip(NEXT) | instid1(VALU_DEP_1)
	v_fmac_f64_e32 v[2:3], v[2:3], v[4:5]
	v_fma_f64 v[4:5], -v[0:1], v[2:3], 1.0
	s_delay_alu instid0(VALU_DEP_1) | instskip(SKIP_1) | instid1(VALU_DEP_1)
	v_fmac_f64_e32 v[2:3], v[2:3], v[4:5]
	v_div_scale_f64 v[4:5], vcc_lo, v[14:15], v[12:13], v[14:15]
	v_mul_f64_e32 v[18:19], v[4:5], v[2:3]
	s_delay_alu instid0(VALU_DEP_1) | instskip(NEXT) | instid1(VALU_DEP_1)
	v_fma_f64 v[0:1], -v[0:1], v[18:19], v[4:5]
	v_div_fmas_f64 v[0:1], v[0:1], v[2:3], v[18:19]
	s_clause 0x4
	scratch_store_b64 off, v[12:13], off offset:104
	scratch_store_b64 off, v[34:35], off offset:252
	;; [unrolled: 1-line block ×3, first 2 shown]
	scratch_load_b64 v[0:1], off, off offset:364 th:TH_LOAD_LU
	scratch_load_b64 v[2:3], off, off offset:380 th:TH_LOAD_LU
	s_wait_loadcnt 0x0
	v_add_f64_e64 v[0:1], v[2:3], -v[0:1]
	s_clause 0x1
	scratch_load_b64 v[2:3], off, off offset:356 th:TH_LOAD_LU
	scratch_load_b64 v[4:5], off, off offset:372 th:TH_LOAD_LU
	v_mul_f64_e32 v[0:1], 0x3fb5555555555555, v[0:1]
	s_wait_loadcnt 0x0
	v_add_f64_e64 v[2:3], v[4:5], -v[2:3]
	s_clause 0x1
	scratch_load_b64 v[4:5], off, off offset:468 th:TH_LOAD_LU
	scratch_load_b64 v[12:13], off, off offset:496 th:TH_LOAD_LU
	v_mul_f64_e32 v[2:3], 0x3fb5555555555555, v[2:3]
	s_wait_loadcnt 0x0
	v_add_f64_e64 v[4:5], v[12:13], -v[4:5]
	s_clause 0x1
	scratch_load_b64 v[12:13], off, off offset:460 th:TH_LOAD_LU
	scratch_load_b64 v[14:15], off, off offset:488 th:TH_LOAD_LU
	v_fma_f64 v[2:3], v[4:5], s[2:3], -v[2:3]
	scratch_load_b64 v[4:5], off, off offset:640 th:TH_LOAD_LU ; 8-byte Folded Reload
	s_wait_loadcnt 0x1
	v_add_f64_e64 v[18:19], v[14:15], -v[12:13]
	s_delay_alu instid0(VALU_DEP_1) | instskip(SKIP_1) | instid1(VALU_DEP_1)
	v_fma_f64 v[0:1], v[18:19], s[2:3], -v[0:1]
	s_wait_loadcnt 0x0
	v_mul_f64_e32 v[0:1], v[4:5], v[0:1]
	s_delay_alu instid0(VALU_DEP_1) | instskip(SKIP_1) | instid1(VALU_DEP_1)
	v_fma_f64 v[116:117], v[24:25], v[2:3], -v[0:1]
	v_div_scale_f64 v[0:1], null, v[72:73], v[72:73], 1.0
	v_rcp_f64_e32 v[4:5], v[0:1]
	v_nop
	s_delay_alu instid0(TRANS32_DEP_1) | instskip(NEXT) | instid1(VALU_DEP_1)
	v_fma_f64 v[10:11], -v[0:1], v[4:5], 1.0
	v_fmac_f64_e32 v[4:5], v[4:5], v[10:11]
	s_delay_alu instid0(VALU_DEP_1) | instskip(NEXT) | instid1(VALU_DEP_1)
	v_fma_f64 v[10:11], -v[0:1], v[4:5], 1.0
	v_fmac_f64_e32 v[4:5], v[4:5], v[10:11]
	v_div_scale_f64 v[10:11], vcc_lo, 1.0, v[72:73], 1.0
	s_delay_alu instid0(VALU_DEP_1) | instskip(NEXT) | instid1(VALU_DEP_1)
	v_mul_f64_e32 v[18:19], v[10:11], v[4:5]
	v_fma_f64 v[0:1], -v[0:1], v[18:19], v[10:11]
	s_delay_alu instid0(VALU_DEP_1) | instskip(SKIP_1) | instid1(VALU_DEP_1)
	v_div_fmas_f64 v[0:1], v[0:1], v[4:5], v[18:19]
	v_div_scale_f64 v[4:5], null, v[88:89], v[88:89], 1.0
	v_rcp_f64_e32 v[10:11], v[4:5]
	v_nop
	s_delay_alu instid0(TRANS32_DEP_1) | instskip(NEXT) | instid1(VALU_DEP_1)
	v_fma_f64 v[18:19], -v[4:5], v[10:11], 1.0
	v_fmac_f64_e32 v[10:11], v[10:11], v[18:19]
	s_delay_alu instid0(VALU_DEP_1) | instskip(NEXT) | instid1(VALU_DEP_1)
	v_fma_f64 v[18:19], -v[4:5], v[10:11], 1.0
	v_fmac_f64_e32 v[10:11], v[10:11], v[18:19]
	v_div_scale_f64 v[18:19], vcc_lo, 1.0, v[88:89], 1.0
	s_delay_alu instid0(VALU_DEP_1) | instskip(NEXT) | instid1(VALU_DEP_1)
	v_mul_f64_e32 v[20:21], v[18:19], v[10:11]
	v_fma_f64 v[4:5], -v[4:5], v[20:21], v[18:19]
	s_delay_alu instid0(VALU_DEP_1)
	v_div_fmas_f64 v[4:5], v[4:5], v[10:11], v[20:21]
	s_clause 0x1
	scratch_load_b64 v[2:3], off, off offset:208 th:TH_LOAD_LU
	scratch_load_b64 v[10:11], off, off offset:536 th:TH_LOAD_LU
	s_wait_loadcnt 0x0
	v_fmac_f64_e32 v[2:3], 0xbfe80000, v[10:11]
	s_delay_alu instid0(VALU_DEP_1)
	v_fmac_f64_e32 v[118:119], v[2:3], v[16:17]
	s_clause 0x1
	scratch_load_b64 v[2:3], off, off offset:184 th:TH_LOAD_LU
	scratch_load_b64 v[10:11], off, off offset:192 th:TH_LOAD_LU
	s_wait_loadcnt 0x0
	v_mul_f64_e32 v[10:11], v[2:3], v[10:11]
	scratch_load_b64 v[2:3], off, off offset:600 th:TH_LOAD_LU ; 8-byte Folded Reload
	s_wait_loadcnt 0x0
	v_mul_f64_e32 v[16:17], v[72:73], v[2:3]
	v_mov_b64_e32 v[64:65], v[2:3]
	s_delay_alu instid0(VALU_DEP_2)
	v_mul_f64_e32 v[16:17], v[2:3], v[16:17]
	s_clause 0xc
	scratch_load_b64 v[42:43], off, off offset:576 th:TH_LOAD_LU
	scratch_load_b64 v[2:3], off, off offset:568 th:TH_LOAD_LU
	;; [unrolled: 1-line block ×12, first 2 shown]
	scratch_load_b32 v28, off, off offset:616 th:TH_LOAD_LU
	v_mul_f64_e32 v[16:17], v[72:73], v[16:17]
	s_wait_loadcnt 0xb
	v_fma_f64 v[18:19], 2.0, v[2:3], v[42:43]
	v_mov_b64_e32 v[54:55], v[2:3]
	s_wait_loadcnt 0x9
	s_delay_alu instid0(VALU_DEP_3)
	v_fmac_f64_e32 v[16:17], v[76:77], v[76:77]
	s_wait_loadcnt 0x6
	v_fma_f64 v[24:25], 2.0, v[12:13], v[48:49]
	s_wait_loadcnt 0x2
	v_mov_b64_e32 v[68:69], v[40:41]
	v_mul_f64_e32 v[18:19], v[18:19], v[108:109]
	s_delay_alu instid0(VALU_DEP_4) | instskip(SKIP_3) | instid1(VALU_DEP_2)
	v_mul_f64_e32 v[16:17], v[2:3], v[16:17]
	scratch_load_b64 v[2:3], off, off offset:336 th:TH_LOAD_LU ; 8-byte Folded Reload
	v_mul_f64_e32 v[24:25], v[24:25], v[112:113]
	v_mul_f64_e32 v[20:21], v[88:89], v[18:19]
	;; [unrolled: 1-line block ×3, first 2 shown]
	s_delay_alu instid0(VALU_DEP_2) | instskip(NEXT) | instid1(VALU_DEP_2)
	v_mul_f64_e32 v[20:21], v[108:109], v[20:21]
	v_mul_f64_e32 v[32:33], v[112:113], v[32:33]
	s_delay_alu instid0(VALU_DEP_2) | instskip(SKIP_1) | instid1(VALU_DEP_1)
	v_fmac_f64_e32 v[16:17], v[88:89], v[20:21]
	v_mul_f64_e32 v[20:21], v[72:73], v[60:61]
	v_mul_f64_e32 v[20:21], v[60:61], v[20:21]
	s_delay_alu instid0(VALU_DEP_1) | instskip(NEXT) | instid1(VALU_DEP_1)
	v_mul_f64_e32 v[20:21], v[72:73], v[20:21]
	v_fmac_f64_e32 v[20:21], v[14:15], v[14:15]
	s_delay_alu instid0(VALU_DEP_1) | instskip(SKIP_1) | instid1(VALU_DEP_2)
	v_mul_f64_e32 v[36:37], v[12:13], v[20:21]
	v_mul_f64_e32 v[20:21], v[72:73], v[66:67]
	v_fmac_f64_e32 v[36:37], v[88:89], v[32:33]
	s_delay_alu instid0(VALU_DEP_2) | instskip(SKIP_3) | instid1(VALU_DEP_4)
	v_mul_f64_e32 v[20:21], v[66:67], v[20:21]
	v_fma_f64 v[32:33], 2.0, v[40:41], v[124:125]
	v_mul_f64_e32 v[66:67], v[68:69], v[66:67]
	v_mul_f64_e32 v[68:69], v[68:69], v[74:75]
	;; [unrolled: 1-line block ×3, first 2 shown]
	s_wait_loadcnt 0x2
	s_delay_alu instid0(VALU_DEP_4) | instskip(SKIP_3) | instid1(VALU_DEP_2)
	v_mul_f64_e32 v[32:33], v[32:33], v[98:99]
	scratch_load_b64 v[72:73], off, off offset:632 th:TH_LOAD_LU ; 8-byte Folded Reload
	v_fmac_f64_e32 v[20:21], v[74:75], v[74:75]
	v_mul_f64_e32 v[34:35], v[88:89], v[32:33]
	v_mul_f64_e32 v[38:39], v[40:41], v[20:21]
	scratch_load_b64 v[20:21], off, off offset:96 th:TH_LOAD_LU ; 8-byte Folded Reload
	v_mul_f64_e32 v[34:35], v[98:99], v[34:35]
	s_delay_alu instid0(VALU_DEP_1) | instskip(SKIP_2) | instid1(VALU_DEP_2)
	v_fmac_f64_e32 v[38:39], v[88:89], v[34:35]
	s_wait_loadcnt 0x0
	v_fmac_f64_e32 v[10:11], v[88:89], v[20:21]
	v_add_f64_e32 v[20:21], v[16:17], v[38:39]
	s_delay_alu instid0(VALU_DEP_2) | instskip(NEXT) | instid1(VALU_DEP_1)
	v_add_f64_e32 v[34:35], v[36:37], v[10:11]
	v_fmac_f64_e32 v[20:21], 0x40080000, v[34:35]
	s_delay_alu instid0(VALU_DEP_1) | instskip(SKIP_2) | instid1(VALU_DEP_2)
	v_mul_f64_e32 v[40:41], v[20:21], v[8:9]
	v_add_f64_e32 v[8:9], v[16:17], v[10:11]
	v_mul_f64_e32 v[16:17], 0x3fb5555555555555, v[110:111]
	v_fmamk_f64 v[8:9], v[8:9], 0xbfe80000, v[36:37]
	s_delay_alu instid0(VALU_DEP_2) | instskip(SKIP_1) | instid1(VALU_DEP_3)
	v_fma_f64 v[20:21], v[102:103], s[2:3], -v[16:17]
	v_mul_f64_e32 v[16:17], 0x3fb5555555555555, v[26:27]
	v_fmac_f64_e32 v[40:41], v[8:9], v[22:23]
	v_mul_f64_e32 v[8:9], 0x3fb5555555555555, v[86:87]
	s_delay_alu instid0(VALU_DEP_3)
	v_fma_f64 v[22:23], v[100:101], s[2:3], -v[16:17]
	v_mul_f64_e32 v[16:17], 0x3fb5555555555555, v[80:81]
	v_mov_b64_e32 v[78:79], v[120:121]
	v_mov_b64_e32 v[80:81], v[122:123]
	v_fma_f64 v[8:9], v[94:95], s[2:3], -v[8:9]
	scratch_store_b128 off, v[78:81], off offset:444 ; 16-byte Folded Spill
	v_fma_f64 v[26:27], v[6:7], s[2:3], -v[16:17]
	global_load_b64 v[6:7], v2, s[18:19] scale_offset
	scratch_load_b64 v[2:3], off, off offset:344 th:TH_LOAD_LU ; 8-byte Folded Reload
	s_wait_loadcnt 0x1
	v_mul_f64_e32 v[16:17], v[18:19], v[6:7]
	s_delay_alu instid0(VALU_DEP_1)
	v_mul_f64_e32 v[8:9], v[16:17], v[8:9]
	s_wait_loadcnt 0x0
	global_load_b64 v[16:17], v2, s[18:19] scale_offset
	scratch_load_b64 v[2:3], off, off offset:320 th:TH_LOAD_LU ; 8-byte Folded Reload
	v_mul_f64_e32 v[122:123], v[88:89], v[8:9]
	v_add_f64_e32 v[8:9], v[10:11], v[38:39]
	s_wait_loadcnt 0x1
	v_mul_f64_e32 v[18:19], v[24:25], v[16:17]
	s_delay_alu instid0(VALU_DEP_1)
	v_mul_f64_e32 v[18:19], v[18:19], v[20:21]
	s_wait_loadcnt 0x0
	global_load_b64 v[20:21], v2, s[18:19] scale_offset
	scratch_load_b64 v[2:3], off, off offset:308 th:TH_LOAD_LU ; 8-byte Folded Reload
	s_wait_loadcnt 0x1
	v_mul_f64_e32 v[24:25], v[32:33], v[20:21]
	s_wait_loadcnt 0x0
	global_load_b64 v[32:33], v2, s[18:19] scale_offset
	s_wait_xcnt 0x0
	v_mov_b64_e32 v[2:3], v[62:63]
	v_mul_f64_e32 v[68:69], v[68:69], v[20:21]
	v_mul_f64_e32 v[22:23], v[24:25], v[22:23]
	v_fma_f64 v[24:25], 2.0, v[72:73], v[44:45]
	s_delay_alu instid0(VALU_DEP_2) | instskip(NEXT) | instid1(VALU_DEP_2)
	v_mul_f64_e32 v[46:47], v[88:89], v[22:23]
	v_mul_f64_e32 v[24:25], v[24:25], v[62:63]
	s_wait_loadcnt 0x0
	s_delay_alu instid0(VALU_DEP_1) | instskip(SKIP_1) | instid1(VALU_DEP_2)
	v_mul_f64_e32 v[34:35], v[24:25], v[32:33]
	v_mul_f64_e32 v[24:25], v[88:89], v[24:25]
	;; [unrolled: 1-line block ×4, first 2 shown]
	s_delay_alu instid0(VALU_DEP_3) | instskip(SKIP_2) | instid1(VALU_DEP_4)
	v_mul_f64_e32 v[24:25], v[62:63], v[24:25]
	v_mul_f64_e32 v[62:63], v[54:55], v[64:65]
	;; [unrolled: 1-line block ×4, first 2 shown]
	s_delay_alu instid0(VALU_DEP_1) | instskip(SKIP_1) | instid1(VALU_DEP_2)
	v_mul_f64_e32 v[34:35], v[120:121], v[34:35]
	v_div_fixup_f64 v[120:121], v[4:5], v[88:89], 1.0
	v_fmac_f64_e32 v[34:35], v[30:31], v[30:31]
	s_delay_alu instid0(VALU_DEP_1) | instskip(SKIP_4) | instid1(VALU_DEP_1)
	v_mul_f64_e32 v[56:57], v[72:73], v[34:35]
	v_mul_f64_e32 v[34:35], v[88:89], v[18:19]
	;; [unrolled: 1-line block ×3, first 2 shown]
	scratch_load_b32 v26, off, off offset:352 th:TH_LOAD_LU ; 4-byte Folded Reload
	v_fmac_f64_e32 v[56:57], v[88:89], v[24:25]
	v_add_f64_e32 v[4:5], v[36:37], v[56:57]
	s_delay_alu instid0(VALU_DEP_1) | instskip(SKIP_2) | instid1(VALU_DEP_3)
	v_fmac_f64_e32 v[4:5], 0x40080000, v[8:9]
	v_div_fixup_f64 v[8:9], v[0:1], v[78:79], 1.0
	v_mul_f64_e32 v[0:1], 0x3fc5555555555555, v[118:119]
	v_fmac_f64_e32 v[40:41], v[84:85], v[4:5]
	v_add_f64_e32 v[4:5], v[10:11], v[56:57]
	s_delay_alu instid0(VALU_DEP_3) | instskip(NEXT) | instid1(VALU_DEP_2)
	v_fma_f64 v[22:23], v[8:9], v[0:1], 0
	v_fmac_f64_e32 v[38:39], 0xbfe80000, v[4:5]
	v_mul_f64_e32 v[4:5], 0x3fc5555555555555, v[114:115]
	s_delay_alu instid0(VALU_DEP_2) | instskip(NEXT) | instid1(VALU_DEP_2)
	v_fmac_f64_e32 v[40:41], v[58:59], v[38:39]
	v_fmac_f64_e32 v[22:23], v[120:121], v[4:5]
	v_mul_f64_e32 v[4:5], v[120:121], v[8:9]
	s_delay_alu instid0(VALU_DEP_3) | instskip(NEXT) | instid1(VALU_DEP_1)
	v_mul_f64_e32 v[0:1], 0x3fc5555555555555, v[40:41]
	v_fmac_f64_e32 v[22:23], v[4:5], v[0:1]
	scratch_load_b32 v0, off, off offset:316 th:TH_LOAD_LU ; 4-byte Folded Reload
	v_mov_b32_e32 v1, v91
	s_delay_alu instid0(VALU_DEP_1)
	v_mov_b32_e32 v38, v1
	v_fmac_f64_e32 v[22:23], 0x3fc5555555555555, v[126:127]
	s_wait_loadcnt 0x1
	v_add3_u32 v87, v28, v26, s20
	v_add3_u32 v86, v1, v26, s20
	v_mov_b32_e32 v52, v26
	s_delay_alu instid0(VALU_DEP_1)
	v_add3_u32 v104, v90, v52, s20
	v_add3_u32 v105, v29, v52, s20
	s_wait_loadcnt 0x0
	v_add3_u32 v91, v1, v0, s20
	v_add3_u32 v96, v28, v0, s20
	v_mov_b32_e32 v53, v0
	s_clause 0x3
	global_load_b64 v[0:1], v91, s[12:13] scale_offset
	global_load_b64 v[4:5], v96, s[12:13] scale_offset
	;; [unrolled: 1-line block ×4, first 2 shown]
	v_add3_u32 v102, v29, v53, s20
	v_add3_u32 v103, v90, v53, s20
	s_wait_loadcnt 0x2
	v_add_f64_e64 v[24:25], v[0:1], -v[4:5]
	s_wait_loadcnt 0x1
	v_add_f64_e64 v[0:1], v[10:11], -v[0:1]
	;; [unrolled: 2-line block ×3, first 2 shown]
	s_clause 0x1
	scratch_load_b32 v11, off, off offset:240 th:TH_LOAD_LU
	scratch_load_b32 v10, off, off offset:628 th:TH_LOAD_LU
	v_add_f64_e64 v[4:5], v[26:27], -v[4:5]
	s_wait_loadcnt 0x1
	v_add3_u32 v92, v38, v11, s20
	v_add3_u32 v94, v28, v11, s20
	s_wait_loadcnt 0x0
	v_add3_u32 v93, v38, v10, s20
	v_mov_b32_e32 v70, v11
	v_add3_u32 v95, v28, v10, s20
	v_mov_b32_e32 v28, v10
	s_clause 0x2
	global_load_b64 v[10:11], v92, s[12:13] scale_offset
	global_load_b64 v[26:27], v94, s[12:13] scale_offset
	global_load_b64 v[38:39], v93, s[12:13] scale_offset
	v_add3_u32 v97, v29, v70, s20
	v_add3_u32 v100, v90, v70, s20
	;; [unrolled: 1-line block ×4, first 2 shown]
	s_wait_loadcnt 0x1
	v_add_f64_e64 v[40:41], v[10:11], -v[26:27]
	s_wait_loadcnt 0x0
	v_add_f64_e64 v[56:57], v[38:39], -v[10:11]
	global_load_b64 v[10:11], v95, s[12:13] scale_offset
	s_wait_loadcnt 0x0
	v_add_f64_e64 v[58:59], v[38:39], -v[10:11]
	v_add_f64_e64 v[26:27], v[10:11], -v[26:27]
	v_mov_b64_e32 v[10:11], v[72:73]
	s_delay_alu instid0(VALU_DEP_1)
	v_mul_f64_e32 v[54:55], v[10:11], v[30:31]
	s_clause 0x1
	global_load_b64 v[30:31], v97, s[12:13] scale_offset
	global_load_b64 v[70:71], v100, s[12:13] scale_offset
	v_mul_f64_e32 v[50:51], v[10:11], v[50:51]
	v_mul_f64_e32 v[54:55], v[54:55], v[32:33]
	s_wait_loadcnt 0x0
	v_add_f64_e64 v[10:11], v[30:31], -v[70:71]
	s_delay_alu instid0(VALU_DEP_1) | instskip(NEXT) | instid1(VALU_DEP_1)
	v_mul_f64_e32 v[10:11], 0x3fb5555555555555, v[10:11]
	v_fma_f64 v[40:41], v[40:41], s[2:3], -v[10:11]
	s_clause 0x2
	global_load_b64 v[10:11], v102, s[12:13] scale_offset
	global_load_b64 v[38:39], v103, s[12:13] scale_offset
	;; [unrolled: 1-line block ×3, first 2 shown]
	s_wait_loadcnt 0x1
	v_add_f64_e64 v[72:73], v[10:11], -v[38:39]
	s_delay_alu instid0(VALU_DEP_1) | instskip(NEXT) | instid1(VALU_DEP_1)
	v_mul_f64_e32 v[72:73], 0x3fb5555555555555, v[72:73]
	v_fma_f64 v[72:73], v[24:25], s[2:3], -v[72:73]
	global_load_b64 v[24:25], v104, s[12:13] scale_offset
	s_wait_loadcnt 0x0
	v_add_f64_e64 v[74:75], v[24:25], -v[38:39]
	global_load_b64 v[38:39], v105, s[12:13] scale_offset
	s_wait_loadcnt 0x0
	v_add_f64_e64 v[24:25], v[38:39], -v[24:25]
	v_add_f64_e64 v[10:11], v[38:39], -v[10:11]
	s_delay_alu instid0(VALU_DEP_2) | instskip(NEXT) | instid1(VALU_DEP_1)
	v_mul_f64_e32 v[24:25], 0x3fb5555555555555, v[24:25]
	v_fma_f64 v[36:37], v[36:37], s[2:3], -v[24:25]
	global_load_b64 v[24:25], v101, s[12:13] scale_offset
	s_wait_loadcnt 0x0
	v_add_f64_e64 v[28:29], v[24:25], -v[70:71]
	v_add_f64_e64 v[24:25], v[84:85], -v[24:25]
	s_delay_alu instid0(VALU_DEP_1) | instskip(NEXT) | instid1(VALU_DEP_1)
	v_mul_f64_e32 v[24:25], 0x3fb5555555555555, v[24:25]
	v_fma_f64 v[70:71], v[58:59], s[2:3], -v[24:25]
	v_mul_f64_e32 v[24:25], 0x3fb5555555555555, v[56:57]
	s_delay_alu instid0(VALU_DEP_1) | instskip(SKIP_1) | instid1(VALU_DEP_1)
	v_fma_f64 v[0:1], v[0:1], s[2:3], -v[24:25]
	v_mul_f64_e32 v[24:25], 0x3fb5555555555555, v[28:29]
	v_fma_f64 v[28:29], v[74:75], s[2:3], -v[24:25]
	v_mul_f64_e32 v[24:25], 0x3fb5555555555555, v[26:27]
	scratch_load_b64 v[26:27], off, off offset:144 th:TH_LOAD_LU ; 8-byte Folded Reload
	v_fma_f64 v[4:5], v[4:5], s[2:3], -v[24:25]
	scratch_load_b64 v[24:25], off, off offset:128 th:TH_LOAD_LU ; 8-byte Folded Reload
	s_wait_loadcnt 0x0
	v_mul_f64_e32 v[24:25], 0x3fb5555555555555, v[24:25]
	s_delay_alu instid0(VALU_DEP_1)
	v_fma_f64 v[56:57], v[26:27], s[2:3], -v[24:25]
	s_clause 0x1
	scratch_load_b64 v[24:25], off, off offset:152 th:TH_LOAD_LU
	scratch_load_b64 v[26:27], off, off offset:160 th:TH_LOAD_LU
	s_wait_loadcnt 0x1
	v_mul_f64_e32 v[24:25], 0x3fb5555555555555, v[24:25]
	s_wait_loadcnt 0x0
	s_delay_alu instid0(VALU_DEP_1)
	v_fma_f64 v[74:75], v[26:27], s[2:3], -v[24:25]
	s_clause 0x1
	scratch_load_b64 v[24:25], off, off offset:268 th:TH_LOAD_LU
	scratch_load_b64 v[26:27], off, off offset:276 th:TH_LOAD_LU
	s_wait_loadcnt 0x1
	v_mul_f64_e32 v[24:25], 0x3fb5555555555555, v[24:25]
	s_wait_loadcnt 0x0
	;; [unrolled: 8-line block ×4, first 2 shown]
	s_delay_alu instid0(VALU_DEP_1)
	v_fma_f64 v[24:25], v[26:27], s[2:3], -v[24:25]
	s_clause 0x1
	scratch_store_b64 off, v[24:25], off offset:96
	scratch_load_b64 v[24:25], off, off offset:292 th:TH_LOAD_LU
	s_wait_loadcnt 0x0
	v_mul_f64_e32 v[26:27], 0x3fb5555555555555, v[24:25]
	scratch_load_b64 v[24:25], off, off offset:300 th:TH_LOAD_LU ; 8-byte Folded Reload
	s_wait_loadcnt 0x0
	v_fma_f64 v[80:81], v[24:25], s[2:3], -v[26:27]
	scratch_load_b32 v24, off, off offset:476 th:TH_LOAD_LU ; 4-byte Folded Reload
	v_mul_f64_e32 v[54:55], v[54:55], v[80:81]
	s_wait_loadcnt 0x0
	v_add_nc_u32_e32 v107, s0, v24
	global_load_b64 v[26:27], v107, s[18:19] scale_offset
	s_clause 0x1
	scratch_load_b64 v[58:59], off, off offset:480 th:TH_LOAD_LU
	scratch_load_b64 v[24:25], off, off offset:8
	s_wait_loadcnt 0x1
	v_mul_f64_e32 v[26:27], v[58:59], v[26:27]
	s_wait_loadcnt 0x0
	s_delay_alu instid0(VALU_DEP_1) | instskip(NEXT) | instid1(VALU_DEP_1)
	v_mul_f64_e32 v[26:27], v[24:25], v[26:27]
	v_mul_f64_e32 v[0:1], v[0:1], v[26:27]
	s_clause 0x1
	scratch_store_b64 off, v[0:1], off offset:128
	scratch_load_b32 v0, off, off offset:396 th:TH_LOAD_LU
	s_wait_loadcnt 0x0
	v_add_nc_u32_e32 v110, s0, v0
	global_load_b64 v[0:1], v110, s[18:19] scale_offset
	s_clause 0x1
	scratch_load_b64 v[88:89], off, off offset:420 th:TH_LOAD_LU
	scratch_load_b64 v[52:53], off, off offset:412 th:TH_LOAD_LU
	s_wait_loadcnt 0x1
	v_mul_f64_e32 v[0:1], v[88:89], v[0:1]
	s_wait_loadcnt 0x0
	s_delay_alu instid0(VALU_DEP_1) | instskip(NEXT) | instid1(VALU_DEP_1)
	v_mul_f64_e32 v[0:1], v[52:53], v[0:1]
	v_mul_f64_e32 v[24:25], v[28:29], v[0:1]
	scratch_load_b32 v0, off, off offset:404 th:TH_LOAD_LU ; 4-byte Folded Reload
	s_wait_loadcnt 0x0
	v_add_nc_u32_e32 v111, s0, v0
	global_load_b64 v[0:1], v111, s[18:19] scale_offset
	s_clause 0x1
	scratch_load_b64 v[118:119], off, off offset:436 th:TH_LOAD_LU
	scratch_load_b64 v[114:115], off, off offset:428 th:TH_LOAD_LU
	s_wait_loadcnt 0x1
	v_mul_f64_e32 v[0:1], v[118:119], v[0:1]
	s_wait_loadcnt 0x0
	s_delay_alu instid0(VALU_DEP_1) | instskip(NEXT) | instid1(VALU_DEP_1)
	v_mul_f64_e32 v[0:1], v[114:115], v[0:1]
	v_mul_f64_e32 v[0:1], v[4:5], v[0:1]
	v_mul_f64_e32 v[4:5], v[66:67], v[20:21]
	scratch_store_b64 off, v[0:1], off offset:144 ; 8-byte Folded Spill
	s_wait_xcnt 0x0
	v_mul_f64_e32 v[0:1], v[62:63], v[6:7]
	v_mul_f64_e32 v[26:27], v[4:5], v[36:37]
	scratch_load_b64 v[62:63], off, off offset:224 th:TH_LOAD_LU ; 8-byte Folded Reload
	v_mul_f64_e32 v[28:29], v[0:1], v[40:41]
	v_mul_f64_e32 v[0:1], v[0:1], v[56:57]
	v_mul_f64_e32 v[56:57], v[4:5], v[74:75]
	v_mul_f64_e32 v[4:5], v[64:65], v[6:7]
	s_delay_alu instid0(VALU_DEP_3) | instskip(NEXT) | instid1(VALU_DEP_3)
	v_fmac_f64_e32 v[0:1], v[8:9], v[122:123]
	v_fmac_f64_e32 v[56:57], v[8:9], v[46:47]
	s_delay_alu instid0(VALU_DEP_3) | instskip(SKIP_2) | instid1(VALU_DEP_3)
	v_mul_f64_e32 v[36:37], v[4:5], v[76:77]
	v_mul_f64_e32 v[4:5], v[50:51], v[32:33]
	v_add_nc_u32_e32 v46, s20, v93
	v_fmac_f64_e32 v[0:1], v[8:9], v[36:37]
	s_delay_alu instid0(VALU_DEP_3) | instskip(SKIP_3) | instid1(VALU_DEP_1)
	v_mul_f64_e32 v[40:41], v[4:5], v[70:71]
	v_mul_f64_e32 v[50:51], v[4:5], v[78:79]
	scratch_load_b64 v[4:5], off, off offset:232 th:TH_LOAD_LU ; 8-byte Folded Reload
	v_fmac_f64_e32 v[50:51], v[8:9], v[18:19]
	v_fmac_f64_e32 v[50:51], v[8:9], v[54:55]
	s_wait_loadcnt 0x0
	v_mul_f64_e32 v[4:5], 0x3fb5555555555555, v[4:5]
	s_delay_alu instid0(VALU_DEP_1) | instskip(SKIP_4) | instid1(VALU_DEP_1)
	v_fma_f64 v[64:65], v[62:63], s[2:3], -v[4:5]
	s_clause 0x1
	scratch_load_b64 v[4:5], off, off offset:112 th:TH_LOAD_LU
	scratch_load_b64 v[62:63], off, off offset:120 th:TH_LOAD_LU
	v_dual_mul_f64 v[64:65], v[68:69], v[64:65] :: v_dual_add_nc_u32 v68, s20, v95
	v_fmac_f64_e32 v[56:57], v[8:9], v[64:65]
	s_wait_loadcnt 0x1
	v_mul_f64_e32 v[4:5], 0x3fb5555555555555, v[4:5]
	s_wait_loadcnt 0x0
	s_delay_alu instid0(VALU_DEP_1) | instskip(SKIP_3) | instid1(VALU_DEP_3)
	v_fma_f64 v[62:63], v[62:63], s[2:3], -v[4:5]
	v_mul_f64_e32 v[4:5], v[12:13], v[60:61]
	v_mul_f64_e32 v[60:61], v[44:45], v[2:3]
	;; [unrolled: 1-line block ×4, first 2 shown]
	s_delay_alu instid0(VALU_DEP_3) | instskip(SKIP_1) | instid1(VALU_DEP_3)
	v_mul_f64_e32 v[32:33], v[60:61], v[32:33]
	v_mul_f64_e32 v[60:61], v[42:43], v[108:109]
	;; [unrolled: 1-line block ×5, first 2 shown]
	scratch_load_b64 v[12:13], off, off offset:216 th:TH_LOAD_LU ; 8-byte Folded Reload
	v_dual_mul_f64 v[60:61], v[60:61], v[6:7] :: v_dual_add_nc_u32 v6, s20, v97
	v_dual_mul_f64 v[72:73], v[124:125], v[98:99] :: v_dual_add_nc_u32 v7, s20, v100
	v_fmac_f64_e32 v[62:63], v[8:9], v[34:35]
	v_dual_add_nc_u32 v34, s20, v106 :: v_dual_add_nc_u32 v35, s20, v101
	v_mul_f64_e32 v[66:67], v[66:67], v[16:17]
	s_delay_alu instid0(VALU_DEP_4)
	v_mul_f64_e32 v[76:77], v[72:73], v[20:21]
	s_wait_loadcnt 0x0
	v_mul_f64_e32 v[70:71], 0x3fb5555555555555, v[12:13]
	scratch_load_b64 v[12:13], off, off offset:200 th:TH_LOAD_LU ; 8-byte Folded Reload
	s_clause 0x3
	global_load_b64 v[42:43], v34, s[12:13] scale_offset
	global_load_b64 v[44:45], v35, s[12:13] scale_offset
	;; [unrolled: 1-line block ×4, first 2 shown]
	s_wait_loadcnt 0x4
	v_fma_f64 v[70:71], v[12:13], s[2:3], -v[70:71]
	s_wait_loadcnt 0x2
	s_wait_xcnt 0x2
	v_add_f64_e64 v[34:35], v[42:43], -v[44:45]
	s_wait_loadcnt 0x0
	v_add_f64_e64 v[68:69], v[46:47], -v[74:75]
	s_delay_alu instid0(VALU_DEP_3) | instskip(NEXT) | instid1(VALU_DEP_3)
	v_mul_f64_e32 v[66:67], v[66:67], v[70:71]
	v_mul_f64_e32 v[34:35], 0x3fb5555555555555, v[34:35]
	s_delay_alu instid0(VALU_DEP_2) | instskip(NEXT) | instid1(VALU_DEP_2)
	v_fmac_f64_e32 v[62:63], v[8:9], v[66:67]
	v_fma_f64 v[34:35], v[68:69], s[2:3], -v[34:35]
	v_dual_add_nc_u32 v68, s20, v92 :: v_dual_add_nc_u32 v69, s20, v94
	s_clause 0x3
	global_load_b64 v[92:93], v6, s[12:13] scale_offset
	global_load_b64 v[94:95], v7, s[12:13] scale_offset
	;; [unrolled: 1-line block ×4, first 2 shown]
	scratch_load_b64 v[12:13], off, off offset:504 th:TH_LOAD_LU ; 8-byte Folded Reload
	s_wait_loadcnt 0x3
	s_wait_xcnt 0x3
	v_add_f64_e64 v[6:7], v[92:93], -v[94:95]
	s_wait_loadcnt 0x1
	s_wait_xcnt 0x1
	v_add_f64_e64 v[68:69], v[100:101], -v[108:109]
	s_wait_loadcnt 0x0
	v_mul_f64_e32 v[20:21], 0x3fc5555555555555, v[12:13]
	s_delay_alu instid0(VALU_DEP_3) | instskip(NEXT) | instid1(VALU_DEP_2)
	v_mul_f64_e32 v[6:7], 0x3fb5555555555555, v[6:7]
	v_fmac_f64_e32 v[22:23], v[8:9], v[20:21]
	v_dual_add_nc_u32 v20, s20, v105 :: v_dual_add_nc_u32 v21, s20, v104
	v_add_f64_e64 v[104:105], v[46:47], -v[100:101]
	v_add_f64_e64 v[100:101], v[74:75], -v[108:109]
	v_fma_f64 v[70:71], v[68:69], s[2:3], -v[6:7]
	scratch_load_b64 v[6:7], off, off offset:388 th:TH_LOAD_LU ; 8-byte Folded Reload
	v_mul_f64_e32 v[68:69], v[32:33], v[34:35]
	v_dual_add_nc_u32 v32, s20, v86 :: v_dual_add_nc_u32 v33, s20, v87
	v_add_f64_e64 v[86:87], v[50:51], -v[0:1]
	v_add_f64_e64 v[0:1], v[84:85], -v[30:31]
	v_mul_f64_e32 v[70:71], v[60:61], v[70:71]
	s_clause 0x3
	global_load_b64 v[54:55], v20, s[12:13] scale_offset
	global_load_b64 v[60:61], v21, s[12:13] scale_offset
	;; [unrolled: 1-line block ×4, first 2 shown]
	v_mul_f64_e32 v[0:1], 0x3fb5555555555555, v[0:1]
	s_delay_alu instid0(VALU_DEP_1) | instskip(SKIP_3) | instid1(VALU_DEP_2)
	v_fma_f64 v[0:1], v[10:11], s[2:3], -v[0:1]
	s_wait_loadcnt 0x4
	v_fma_f64 v[6:7], v[6:7], s[2:3], -v[2:3]
	v_mul_f64_e32 v[2:3], v[48:49], v[112:113]
	v_add_f64_e32 v[6:7], v[22:23], v[6:7]
	v_mul_f64_e32 v[22:23], 0x3fb5555555555555, v[86:87]
	s_wait_loadcnt 0x2
	s_wait_xcnt 0x2
	v_add_f64_e64 v[20:21], v[54:55], -v[60:61]
	s_wait_loadcnt 0x0
	v_add_f64_e64 v[32:33], v[78:79], -v[72:73]
	s_delay_alu instid0(VALU_DEP_2) | instskip(NEXT) | instid1(VALU_DEP_1)
	v_mul_f64_e32 v[20:21], 0x3fb5555555555555, v[20:21]
	v_fma_f64 v[80:81], v[32:33], s[2:3], -v[20:21]
	v_dual_mul_f64 v[20:21], v[2:3], v[16:17] :: v_dual_add_nc_u32 v2, s20, v102
	v_add_nc_u32_e32 v16, s20, v103
	v_dual_add_nc_u32 v32, s20, v91 :: v_dual_add_nc_u32 v33, s20, v96
	s_clause 0x3
	global_load_b64 v[2:3], v2, s[12:13] scale_offset
	global_load_b64 v[16:17], v16, s[12:13] scale_offset
	global_load_b64 v[36:37], v32, s[12:13] scale_offset
	global_load_b64 v[34:35], v33, s[12:13] scale_offset
	scratch_load_b32 v10, off, off offset:244 th:TH_LOAD_LU ; 4-byte Folded Reload
	s_wait_loadcnt 0x4
	v_add_f64_e64 v[98:99], v[54:55], -v[2:3]
	s_wait_loadcnt 0x3
	v_add_f64_e64 v[30:31], v[2:3], -v[16:17]
	s_wait_xcnt 0x4
	v_subrev_nc_u32_e32 v2, s20, v110
	s_wait_loadcnt 0x1
	s_wait_xcnt 0x1
	v_add_f64_e64 v[32:33], v[36:37], -v[34:35]
	v_add_f64_e64 v[38:39], v[60:61], -v[16:17]
	v_subrev_nc_u32_e32 v16, s20, v111
	v_add_f64_e64 v[36:37], v[78:79], -v[36:37]
	v_add_f64_e64 v[34:35], v[72:73], -v[34:35]
	v_mul_f64_e32 v[30:31], 0x3fb5555555555555, v[30:31]
	s_delay_alu instid0(VALU_DEP_1)
	v_fma_f64 v[32:33], v[32:33], s[2:3], -v[30:31]
	s_wait_loadcnt 0x0
	v_add_nc_u32_e32 v30, s0, v10
	global_load_b64 v[10:11], v30, s[18:19] scale_offset
	s_clause 0x2
	scratch_load_b64 v[12:13], off, off offset:260 th:TH_LOAD_LU
	scratch_load_b64 v[84:85], off, off offset:252 th:TH_LOAD_LU
	scratch_load_b64 v[74:75], off, off th:TH_LOAD_LU
	global_load_b64 v[2:3], v2, s[18:19] scale_offset
	v_mul_f64_e32 v[20:21], v[20:21], v[32:33]
	s_wait_loadcnt 0x3
	v_mul_f64_e32 v[10:11], v[12:13], v[10:11]
	s_wait_loadcnt 0x2
	s_delay_alu instid0(VALU_DEP_1) | instskip(NEXT) | instid1(VALU_DEP_1)
	v_mul_f64_e32 v[10:11], v[84:85], v[10:11]
	v_mul_f64_e32 v[10:11], v[0:1], v[10:11]
	v_subrev_nc_u32_e32 v0, s20, v30
	global_load_b64 v[0:1], v0, s[18:19] scale_offset
	s_wait_xcnt 0x5
	v_mul_f64_e32 v[30:31], v[82:83], v[10:11]
	v_subrev_nc_u32_e32 v10, s20, v107
	s_clause 0x1
	global_load_b64 v[106:107], v16, s[18:19] scale_offset
	global_load_b64 v[10:11], v10, s[18:19] scale_offset
	s_wait_loadcnt 0x3
	v_mul_f64_e32 v[102:103], v[88:89], v[2:3]
	s_wait_xcnt 0x3
	v_add_f64_e64 v[2:3], v[44:45], -v[94:95]
	v_mul_f64_e32 v[30:31], v[120:121], v[30:31]
	s_delay_alu instid0(VALU_DEP_2) | instskip(NEXT) | instid1(VALU_DEP_1)
	v_mul_f64_e32 v[2:3], 0x3fb5555555555555, v[2:3]
	v_fma_f64 v[2:3], v[38:39], s[2:3], -v[2:3]
	s_wait_loadcnt 0x2
	v_mul_f64_e32 v[96:97], v[12:13], v[0:1]
	s_wait_xcnt 0x2
	v_add_f64_e64 v[0:1], v[42:43], -v[92:93]
	global_load_b64 v[16:17], v74, s[6:7] scale_offset
	s_clause 0x2
	scratch_load_b64 v[42:43], off, off offset:32 th:TH_LOAD_LU
	scratch_load_b128 v[64:67], off, off offset:444 th:TH_LOAD_LU
	scratch_load_b128 v[88:91], off, off offset:72 th:TH_LOAD_LU
	s_wait_loadcnt 0x5
	v_mul_f64_e32 v[54:55], v[118:119], v[106:107]
	v_mul_f64_e32 v[32:33], v[84:85], v[96:97]
	;; [unrolled: 1-line block ×3, first 2 shown]
	s_wait_loadcnt 0x4
	s_wait_xcnt 0x4
	v_mul_f64_e32 v[10:11], v[58:59], v[10:11]
	s_delay_alu instid0(VALU_DEP_2) | instskip(NEXT) | instid1(VALU_DEP_1)
	v_fma_f64 v[0:1], v[98:99], s[2:3], -v[0:1]
	v_fmac_f64_e32 v[30:31], v[0:1], v[32:33]
	s_wait_loadcnt 0x2
	v_mul_f64_e32 v[42:43], 0x3fb5555555555555, v[42:43]
	s_wait_loadcnt 0x1
	v_mul_f64_e32 v[40:41], v[64:65], v[40:41]
	;; [unrolled: 2-line block ×3, first 2 shown]
	s_clause 0x4
	scratch_load_b64 v[46:47], off, off offset:16 th:TH_LOAD_LU
	scratch_load_b64 v[60:61], off, off offset:24 th:TH_LOAD_LU
	;; [unrolled: 1-line block ×5, first 2 shown]
	v_mul_f64_e32 v[28:29], v[64:65], v[28:29]
	v_mul_f64_e32 v[4:5], v[64:65], v[4:5]
	v_fmac_f64_e32 v[68:69], v[120:121], v[40:41]
	v_mul_f64_e32 v[40:41], v[52:53], v[102:103]
	v_mul_f64_e32 v[52:53], 0x3fb5555555555555, v[104:105]
	v_mul_f64_e32 v[38:39], v[120:121], v[44:45]
	v_fmac_f64_e32 v[70:71], v[120:121], v[28:29]
	v_mul_f64_e32 v[28:29], v[76:77], v[80:81]
	v_fmac_f64_e32 v[20:21], v[120:121], v[4:5]
	v_fma_f64 v[36:37], v[36:37], s[2:3], -v[52:53]
	v_fmac_f64_e32 v[38:39], v[2:3], v[40:41]
	v_add_f64_e64 v[44:45], v[68:69], -v[70:71]
	s_delay_alu instid0(VALU_DEP_1)
	v_mul_f64_e32 v[2:3], 0x3fb5555555555555, v[44:45]
	s_wait_loadcnt 0x2
	v_fmac_f64_e32 v[60:61], v[24:25], v[46:47]
	v_mul_f64_e32 v[24:25], v[64:65], v[26:27]
	s_wait_loadcnt 0x1
	v_mul_f64_e32 v[26:27], v[66:67], v[12:13]
	scratch_load_b64 v[12:13], off, off offset:144 th:TH_LOAD_LU ; 8-byte Folded Reload
	s_wait_loadcnt 0x1
	v_fma_f64 v[42:43], v[48:49], s[2:3], -v[42:43]
	s_clause 0x1
	scratch_load_b64 v[48:49], off, off offset:56 th:TH_LOAD_LU
	scratch_load_b64 v[50:51], off, off offset:64 th:TH_LOAD_LU
	v_fmac_f64_e32 v[28:29], v[120:121], v[24:25]
	v_mul_f64_e32 v[26:27], v[120:121], v[26:27]
	v_add_f64_e32 v[6:7], v[42:43], v[6:7]
	scratch_load_b64 v[42:43], off, off offset:48 th:TH_LOAD_LU ; 8-byte Folded Reload
	v_add_f64_e64 v[4:5], v[28:29], -v[20:21]
	s_delay_alu instid0(VALU_DEP_1)
	v_fma_f64 v[2:3], v[4:5], s[2:3], -v[2:3]
	s_wait_loadcnt 0x3
	v_mul_f64_e32 v[46:47], v[90:91], v[12:13]
	scratch_load_b64 v[12:13], off, off offset:8 th:TH_LOAD_LU ; 8-byte Folded Reload
	s_wait_loadcnt 0x2
	v_add_f64_e64 v[48:49], v[48:49], -v[50:51]
	v_add_f64_e64 v[50:51], v[56:57], -v[62:63]
	v_mul_f64_e32 v[56:57], 0x3fb5555555555555, v[100:101]
	v_mul_f64_e32 v[46:47], v[120:121], v[46:47]
	s_wait_loadcnt 0x1
	v_add_f64_e64 v[42:43], v[42:43], -v[60:61]
	s_delay_alu instid0(VALU_DEP_4) | instskip(SKIP_3) | instid1(VALU_DEP_4)
	v_fma_f64 v[22:23], v[50:51], s[2:3], -v[22:23]
	v_mul_f64_e32 v[24:25], 0x3fb5555555555555, v[48:49]
	v_mul_f64_e32 v[48:49], v[114:115], v[54:55]
	v_fma_f64 v[34:35], v[34:35], s[2:3], -v[56:57]
	v_add_f64_e32 v[0:1], v[6:7], v[22:23]
	s_delay_alu instid0(VALU_DEP_4) | instskip(NEXT) | instid1(VALU_DEP_3)
	v_fma_f64 v[6:7], v[42:43], s[2:3], -v[24:25]
	v_fmac_f64_e32 v[46:47], v[34:35], v[48:49]
	s_delay_alu instid0(VALU_DEP_2) | instskip(NEXT) | instid1(VALU_DEP_1)
	v_fmac_f64_e32 v[0:1], v[8:9], v[6:7]
	v_add_f64_e32 v[0:1], v[0:1], v[2:3]
	s_wait_loadcnt 0x0
	v_mul_f64_e32 v[10:11], v[12:13], v[10:11]
	s_delay_alu instid0(VALU_DEP_1) | instskip(SKIP_1) | instid1(VALU_DEP_2)
	v_fmac_f64_e32 v[26:27], v[36:37], v[10:11]
	v_add_f64_e64 v[10:11], v[30:31], -v[38:39]
	v_add_f64_e64 v[18:19], v[26:27], -v[46:47]
	s_delay_alu instid0(VALU_DEP_2) | instskip(NEXT) | instid1(VALU_DEP_1)
	v_mul_f64_e32 v[4:5], 0x3fb5555555555555, v[10:11]
	v_fma_f64 v[2:3], v[18:19], s[2:3], -v[4:5]
	s_delay_alu instid0(VALU_DEP_1)
	v_add_f64_e32 v[0:1], v[0:1], v[2:3]
	s_clause 0x2
	scratch_load_b64 v[2:3], off, off offset:88 th:TH_LOAD_LU
	scratch_load_b64 v[4:5], off, off offset:104 th:TH_LOAD_LU
	;; [unrolled: 1-line block ×3, first 2 shown]
	v_mul_f64_e32 v[0:1], s[10:11], v[0:1]
	s_wait_loadcnt 0x0
	v_div_fixup_f64 v[2:3], v[2:3], v[4:5], v[6:7]
	s_delay_alu instid0(VALU_DEP_1) | instskip(NEXT) | instid1(VALU_DEP_1)
	v_mul_f64_e32 v[0:1], v[2:3], v[0:1]
	v_fmac_f64_e32 v[0:1], s[8:9], v[16:17]
	global_store_b64 v74, v[0:1], s[6:7] scale_offset
.LBB1_2:
	s_sendmsg sendmsg(MSG_DEALLOC_VGPRS)
	s_endpgm
	.section	.rodata,"a",@progbits
	.p2align	6, 0x0
	.amdhsa_kernel _Z7kernel2iiiiiiiiiiiiddPKdS0_S0_S0_S0_PdS0_S0_S0_S0_S0_S0_S0_
		.amdhsa_group_segment_fixed_size 0
		.amdhsa_private_segment_fixed_size 716
		.amdhsa_kernarg_size 424
		.amdhsa_user_sgpr_count 2
		.amdhsa_user_sgpr_dispatch_ptr 0
		.amdhsa_user_sgpr_queue_ptr 0
		.amdhsa_user_sgpr_kernarg_segment_ptr 1
		.amdhsa_user_sgpr_dispatch_id 0
		.amdhsa_user_sgpr_kernarg_preload_length 0
		.amdhsa_user_sgpr_kernarg_preload_offset 0
		.amdhsa_user_sgpr_private_segment_size 0
		.amdhsa_wavefront_size32 1
		.amdhsa_uses_dynamic_stack 0
		.amdhsa_enable_private_segment 1
		.amdhsa_system_sgpr_workgroup_id_x 1
		.amdhsa_system_sgpr_workgroup_id_y 1
		.amdhsa_system_sgpr_workgroup_id_z 1
		.amdhsa_system_sgpr_workgroup_info 0
		.amdhsa_system_vgpr_workitem_id 2
		.amdhsa_next_free_vgpr 128
		.amdhsa_next_free_sgpr 28
		.amdhsa_named_barrier_count 0
		.amdhsa_reserve_vcc 1
		.amdhsa_float_round_mode_32 0
		.amdhsa_float_round_mode_16_64 0
		.amdhsa_float_denorm_mode_32 3
		.amdhsa_float_denorm_mode_16_64 3
		.amdhsa_fp16_overflow 0
		.amdhsa_memory_ordered 1
		.amdhsa_forward_progress 1
		.amdhsa_inst_pref_size 95
		.amdhsa_round_robin_scheduling 0
		.amdhsa_exception_fp_ieee_invalid_op 0
		.amdhsa_exception_fp_denorm_src 0
		.amdhsa_exception_fp_ieee_div_zero 0
		.amdhsa_exception_fp_ieee_overflow 0
		.amdhsa_exception_fp_ieee_underflow 0
		.amdhsa_exception_fp_ieee_inexact 0
		.amdhsa_exception_int_div_zero 0
	.end_amdhsa_kernel
	.text
.Lfunc_end1:
	.size	_Z7kernel2iiiiiiiiiiiiddPKdS0_S0_S0_S0_PdS0_S0_S0_S0_S0_S0_S0_, .Lfunc_end1-_Z7kernel2iiiiiiiiiiiiddPKdS0_S0_S0_S0_PdS0_S0_S0_S0_S0_S0_S0_
                                        ; -- End function
	.set _Z7kernel2iiiiiiiiiiiiddPKdS0_S0_S0_S0_PdS0_S0_S0_S0_S0_S0_S0_.num_vgpr, 128
	.set _Z7kernel2iiiiiiiiiiiiddPKdS0_S0_S0_S0_PdS0_S0_S0_S0_S0_S0_S0_.num_agpr, 0
	.set _Z7kernel2iiiiiiiiiiiiddPKdS0_S0_S0_S0_PdS0_S0_S0_S0_S0_S0_S0_.numbered_sgpr, 28
	.set _Z7kernel2iiiiiiiiiiiiddPKdS0_S0_S0_S0_PdS0_S0_S0_S0_S0_S0_S0_.num_named_barrier, 0
	.set _Z7kernel2iiiiiiiiiiiiddPKdS0_S0_S0_S0_PdS0_S0_S0_S0_S0_S0_S0_.private_seg_size, 716
	.set _Z7kernel2iiiiiiiiiiiiddPKdS0_S0_S0_S0_PdS0_S0_S0_S0_S0_S0_S0_.uses_vcc, 1
	.set _Z7kernel2iiiiiiiiiiiiddPKdS0_S0_S0_S0_PdS0_S0_S0_S0_S0_S0_S0_.uses_flat_scratch, 1
	.set _Z7kernel2iiiiiiiiiiiiddPKdS0_S0_S0_S0_PdS0_S0_S0_S0_S0_S0_S0_.has_dyn_sized_stack, 0
	.set _Z7kernel2iiiiiiiiiiiiddPKdS0_S0_S0_S0_PdS0_S0_S0_S0_S0_S0_S0_.has_recursion, 0
	.set _Z7kernel2iiiiiiiiiiiiddPKdS0_S0_S0_S0_PdS0_S0_S0_S0_S0_S0_S0_.has_indirect_call, 0
	.section	.AMDGPU.csdata,"",@progbits
; Kernel info:
; codeLenInByte = 12064
; TotalNumSgprs: 30
; NumVgprs: 128
; ScratchSize: 716
; MemoryBound: 0
; FloatMode: 240
; IeeeMode: 1
; LDSByteSize: 0 bytes/workgroup (compile time only)
; SGPRBlocks: 0
; VGPRBlocks: 7
; NumSGPRsForWavesPerEU: 30
; NumVGPRsForWavesPerEU: 128
; NamedBarCnt: 0
; Occupancy: 8
; WaveLimiterHint : 0
; COMPUTE_PGM_RSRC2:SCRATCH_EN: 1
; COMPUTE_PGM_RSRC2:USER_SGPR: 2
; COMPUTE_PGM_RSRC2:TRAP_HANDLER: 0
; COMPUTE_PGM_RSRC2:TGID_X_EN: 1
; COMPUTE_PGM_RSRC2:TGID_Y_EN: 1
; COMPUTE_PGM_RSRC2:TGID_Z_EN: 1
; COMPUTE_PGM_RSRC2:TIDIG_COMP_CNT: 2
	.text
	.protected	_Z7kernel3iiiiiiiiiiiiddPKdS0_S0_S0_S0_PdS0_S0_S0_S0_S0_S0_S0_ ; -- Begin function _Z7kernel3iiiiiiiiiiiiddPKdS0_S0_S0_S0_PdS0_S0_S0_S0_S0_S0_S0_
	.globl	_Z7kernel3iiiiiiiiiiiiddPKdS0_S0_S0_S0_PdS0_S0_S0_S0_S0_S0_S0_
	.p2align	8
	.type	_Z7kernel3iiiiiiiiiiiiddPKdS0_S0_S0_S0_PdS0_S0_S0_S0_S0_S0_S0_,@function
_Z7kernel3iiiiiiiiiiiiddPKdS0_S0_S0_S0_PdS0_S0_S0_S0_S0_S0_S0_: ; @_Z7kernel3iiiiiiiiiiiiddPKdS0_S0_S0_S0_PdS0_S0_S0_S0_S0_S0_S0_
; %bb.0:
	s_clause 0x1
	s_load_b64 s[2:3], s[0:1], 0xb4
	s_load_b256 s[16:23], s[0:1], 0x0
	s_bfe_u32 s8, ttmp6, 0x40010
	s_bfe_u32 s5, ttmp6, 0x40014
	;; [unrolled: 1-line block ×3, first 2 shown]
	s_and_b32 s7, ttmp7, 0xffff
	s_add_co_i32 s8, s8, 1
	s_lshr_b32 s4, ttmp7, 16
	s_add_co_i32 s5, s5, 1
	s_add_co_i32 s11, s11, 1
	s_bfe_u32 s9, ttmp6, 0x40004
	s_mul_i32 s8, s7, s8
	s_bfe_u32 s6, ttmp6, 0x40008
	s_and_b32 s10, ttmp6, 15
	s_mul_i32 s5, s4, s5
	s_mul_i32 s11, ttmp9, s11
	s_add_co_i32 s9, s9, s8
	s_getreg_b32 s8, hwreg(HW_REG_IB_STS2, 6, 4)
	s_add_co_i32 s6, s6, s5
	s_add_co_i32 s10, s10, s11
	s_wait_kmcnt 0x0
	s_and_b32 s3, s3, 0xffff
	s_lshr_b32 s5, s2, 16
	s_and_b32 s2, s2, 0xffff
	s_cmp_eq_u32 s8, 0
	v_and_b32_e32 v1, 0x3ff, v0
	s_cselect_b32 s8, ttmp9, s10
	v_bfe_u32 v3, v0, 10, 10
	s_mul_i32 s8, s8, s2
	s_cselect_b32 s2, s7, s9
	v_bfe_u32 v0, v0, 20, 10
	s_mul_i32 s2, s2, s5
	s_cselect_b32 s4, s4, s6
	v_add3_u32 v2, s8, s16, v1
	v_add3_u32 v13, s2, s18, v3
	s_mul_i32 s4, s4, s3
	s_delay_alu instid0(SALU_CYCLE_1) | instskip(NEXT) | instid1(VALU_DEP_3)
	v_add3_u32 v12, s4, s20, v0
	v_cmp_gt_i32_e32 vcc_lo, s17, v2
	s_delay_alu instid0(VALU_DEP_3) | instskip(NEXT) | instid1(VALU_DEP_3)
	v_cmp_gt_i32_e64 s2, s19, v13
	v_cmp_gt_i32_e64 s3, s21, v12
	s_and_b32 s2, vcc_lo, s2
	s_delay_alu instid0(SALU_CYCLE_1) | instskip(NEXT) | instid1(SALU_CYCLE_1)
	s_and_b32 s2, s2, s3
	s_and_saveexec_b32 s3, s2
	s_cbranch_execz .LBB2_2
; %bb.1:
	s_load_b256 s[4:11], s[0:1], 0x20
	s_sub_co_i32 s28, s23, s22
	s_load_b256 s[12:19], s[0:1], 0x40
	s_not_b32 s2, s28
	s_add_co_i32 s28, s28, 1
	v_dual_add_nc_u32 v14, -2, v2 :: v_dual_add_nc_u32 v16, -1, v2
	v_mul_lo_u32 v0, v13, s28
	s_load_b128 s[24:27], s[0:1], 0x98
	v_subrev_nc_u32_e32 v76, s22, v2
	s_delay_alu instid0(VALU_DEP_2)
	v_dual_ashrrev_i32 v3, 31, v2 :: v_dual_ashrrev_i32 v1, 31, v0
	s_wait_kmcnt 0x0
	s_sub_co_i32 s3, s5, s4
	s_mul_i32 s2, s4, s2
	s_add_co_i32 s5, s3, 1
	s_sub_co_i32 s3, s7, s6
	s_mul_i32 s5, s5, s28
	s_add_co_i32 s3, s3, 1
	s_mul_i32 s6, s5, s6
	s_mul_i32 s20, s3, s5
	s_add_co_i32 s6, s22, s6
	v_mul_lo_u32 v20, v12, s5
	s_sub_co_i32 s6, s2, s6
	s_mul_i32 s23, s20, 3
	s_sub_co_i32 s2, s6, s20
	s_ashr_i32 s21, s20, 31
	v_add_nc_u32_e32 v75, s2, v2
	s_ashr_i32 s3, s2, 31
	v_subrev_nc_u32_e32 v42, s4, v13
	v_add_nc_u64_e32 v[4:5], s[2:3], v[2:3]
	s_lshl_b32 s4, s20, 1
	s_delay_alu instid0(VALU_DEP_4) | instskip(NEXT) | instid1(VALU_DEP_1)
	v_dual_add_nc_u32 v119, v0, v75 :: v_dual_ashrrev_i32 v21, 31, v20
	v_add_nc_u32_e32 v74, v119, v20
	s_delay_alu instid0(VALU_DEP_3) | instskip(SKIP_2) | instid1(VALU_DEP_4)
	v_add_nc_u64_e32 v[4:5], v[4:5], v[0:1]
	v_add3_u32 v1, v20, v0, s6
	v_add_nc_u32_e32 v3, s6, v2
	v_dual_add_nc_u32 v62, s20, v74 :: v_dual_add_nc_u32 v8, s23, v74
	s_delay_alu instid0(VALU_DEP_3) | instskip(SKIP_1) | instid1(VALU_DEP_3)
	v_dual_add_nc_u32 v17, v1, v16 :: v_dual_add_nc_u32 v15, v1, v14
	v_add_nc_u64_e32 v[4:5], v[4:5], v[20:21]
	v_dual_add_nc_u32 v6, s20, v62 :: v_dual_ashrrev_i32 v9, 31, v8
	v_dual_mov_b32 v21, v1 :: v_dual_ashrrev_i32 v77, 31, v76
	v_ashrrev_i32_e32 v63, 31, v62
	s_delay_alu instid0(VALU_DEP_3) | instskip(NEXT) | instid1(VALU_DEP_4)
	v_dual_ashrrev_i32 v7, 31, v6 :: v_dual_add_nc_u32 v102, v0, v3
	v_lshl_add_u64 v[0:1], v[8:9], 3, s[18:19]
	v_mov_b32_e32 v118, v8
	v_add_nc_u64_e32 v[4:5], s[20:21], v[4:5]
	v_lshl_add_u64 v[92:93], v[76:77], 3, s[24:25]
	v_add_nc_u32_e32 v8, v102, v20
	s_clause 0x1
	scratch_store_b64 off, v[6:7], off
	scratch_store_b64 off, v[118:119], off offset:304
	s_wait_xcnt 0x1
	v_lshlrev_b64_e32 v[6:7], 3, v[6:7]
	scratch_store_b32 off, v21, off offset:84 ; 4-byte Folded Spill
	v_lshl_add_u64 v[26:27], v[4:5], 3, s[18:19]
	scratch_store_b32 off, v8, off offset:76 ; 4-byte Folded Spill
	v_add_nc_u64_e32 v[28:29], s[18:19], v[6:7]
	scratch_store_b64 off, v[6:7], off offset:64 ; 8-byte Folded Spill
	global_load_b64 v[10:11], v15, s[14:15] scale_offset
	global_load_b128 v[22:25], v[0:1], off offset:-16
	global_load_b64 v[18:19], v17, s[14:15] scale_offset
	s_clause 0x1
	global_load_b128 v[4:7], v[26:27], off offset:-16
	global_load_b128 v[30:33], v[28:29], off offset:-16
	s_clause 0x1
	global_load_b64 v[40:41], v8, s[14:15] scale_offset
	global_load_b64 v[8:9], v8, s[16:17] scale_offset
	v_dual_add_nc_u32 v15, 1, v2 :: v_dual_add_nc_u32 v17, -2, v13
	v_add_nc_u32_e32 v126, 2, v2
	v_lshl_add_u64 v[26:27], v[62:63], 3, s[18:19]
	global_load_b128 v[44:47], v[92:93], off
	v_add_nc_u32_e32 v2, v21, v15
	v_mul_lo_u32 v17, v17, s28
	v_add_nc_u32_e32 v21, s20, v20
	global_load_b128 v[70:73], v[26:27], off
	global_load_b64 v[34:35], v2, s[14:15] scale_offset
                                        ; kill: killed $vgpr2
                                        ; kill: killed $vgpr26_vgpr27
	s_clause 0x1
	global_load_b128 v[82:85], v[0:1], off
	global_load_b128 v[88:91], v[28:29], off
	s_wait_xcnt 0x2
	v_add3_u32 v2, v126, s2, v21
	s_wait_xcnt 0x1
	s_delay_alu instid0(VALU_DEP_1)
	v_add_nc_u32_e32 v0, v2, v17
	v_add3_u32 v63, v14, s2, v21
	v_add_nc_u32_e32 v68, s28, v17
	v_add3_u32 v69, v15, s2, v21
	v_add3_u32 v21, v16, s2, v21
	global_load_b64 v[36:37], v0, s[12:13] scale_offset
	v_add_nc_u32_e32 v1, v63, v17
	v_lshl_add_u32 v13, s28, 1, v68
	v_add3_u32 v112, v20, v17, v3
	s_mov_b64 s[2:3], 0x3fe5555555555555
	v_add3_u32 v113, v20, v68, v3
	global_load_b64 v[38:39], v1, s[12:13] scale_offset
	s_wait_xcnt 0x1
	v_dual_ashrrev_i32 v43, 31, v42 :: v_dual_add_nc_u32 v0, s28, v13
	v_add_nc_u32_e32 v26, v17, v75
	v_add3_u32 v103, v20, v13, v3
	s_delay_alu instid0(VALU_DEP_3)
	v_lshl_add_u64 v[108:109], v[42:43], 3, s[26:27]
	s_wait_xcnt 0x0
	v_dual_add_nc_u32 v1, v2, v0 :: v_dual_add_nc_u32 v14, v63, v0
	v_add_nc_u32_e32 v16, v26, v20
	v_add3_u32 v43, v20, v0, v3
	scratch_store_b32 off, v26, off offset:132 ; 4-byte Folded Spill
	s_clause 0x1
	global_load_b64 v[50:51], v1, s[12:13] scale_offset
	global_load_b64 v[58:59], v14, s[12:13] scale_offset
	s_wait_xcnt 0x0
	v_dual_add_nc_u32 v14, v21, v17 :: v_dual_add_nc_u32 v15, s20, v16
	v_dual_mov_b32 v127, v16 :: v_dual_add_nc_u32 v1, v69, v17
	scratch_store_b32 off, v127, off offset:292 ; 4-byte Folded Spill
	s_wait_loadcnt 0xd
	v_mul_f64_e32 v[16:17], v[18:19], v[24:25]
	s_wait_loadcnt 0xc
	v_mul_f64_e32 v[24:25], v[18:19], v[6:7]
	;; [unrolled: 2-line block ×7, first 2 shown]
	s_wait_loadcnt 0x3
	scratch_store_b64 off, v[36:37], off offset:92 ; 8-byte Folded Spill
	s_wait_loadcnt 0x2
	scratch_store_b64 off, v[38:39], off offset:284 ; 8-byte Folded Spill
	v_mul_f64_e32 v[54:55], v[6:7], v[24:25]
	v_mul_f64_e32 v[100:101], v[6:7], v[28:29]
	s_wait_loadcnt 0x1
	scratch_store_b64 off, v[50:51], off offset:328 ; 8-byte Folded Spill
	s_wait_loadcnt 0x0
	scratch_store_b64 off, v[58:59], off offset:732 ; 8-byte Folded Spill
	global_load_b128 v[64:67], v[108:109], off
	global_load_b64 v[48:49], v112, s[16:17] scale_offset
	global_load_b64 v[80:81], v1, s[12:13] scale_offset
	s_wait_xcnt 0x0
	v_add_nc_u32_e32 v1, v0, v75
	global_load_b64 v[26:27], v15, s[18:19] scale_offset
	global_load_b64 v[86:87], v14, s[12:13] scale_offset
	v_add_f64_e64 v[24:25], v[50:51], -v[58:59]
	v_mul_f64_e32 v[50:51], v[72:73], v[78:79]
	s_wait_xcnt 0x1
	v_add_nc_u32_e32 v15, v1, v20
	scratch_store_b32 off, v1, off offset:148 ; 4-byte Folded Spill
	s_wait_xcnt 0x0
	v_add_nc_u32_e32 v1, v69, v0
	scratch_store_b32 off, v15, off offset:72 ; 4-byte Folded Spill
	global_load_b64 v[98:99], v1, s[12:13] scale_offset
	v_dual_add_nc_u32 v14, v21, v0 :: v_dual_add_nc_u32 v0, s20, v15
	global_load_b64 v[106:107], v14, s[12:13] scale_offset
	s_wait_xcnt 0x0
	v_mul_f64_e32 v[14:15], v[88:89], v[94:95]
	s_wait_loadcnt 0x4
	scratch_store_b64 off, v[80:81], off offset:200 ; 8-byte Folded Spill
	s_wait_loadcnt 0x2
	scratch_store_b64 off, v[86:87], off offset:220 ; 8-byte Folded Spill
	s_wait_loadcnt 0x1
	s_clause 0x1
	scratch_store_b64 off, v[98:99], off offset:296
	scratch_store_b32 off, v0, off offset:480
	s_wait_loadcnt 0x0
	scratch_store_b64 off, v[106:107], off offset:312 ; 8-byte Folded Spill
	global_load_b64 v[110:111], v43, s[16:17] scale_offset
	global_load_b64 v[60:61], v0, s[18:19] scale_offset
	s_wait_xcnt 0x0
	v_mul_f64_e32 v[0:1], v[10:11], v[22:23]
	v_mul_f64_e32 v[22:23], v[10:11], v[4:5]
	v_mul_f64_e32 v[10:11], v[10:11], v[30:31]
	v_fma_f64 v[30:31], 2.0, v[40:41], v[8:9]
	scratch_store_b64 off, v[14:15], off offset:556 ; 8-byte Folded Spill
	s_wait_xcnt 0x0
	v_mul_f64_e32 v[14:15], v[72:73], v[84:85]
	v_add_f64_e32 v[8:9], v[40:41], v[8:9]
	v_mul_f64_e32 v[0:1], v[4:5], v[0:1]
	v_mul_f64_e32 v[104:105], v[4:5], v[22:23]
	;; [unrolled: 1-line block ×4, first 2 shown]
	v_add_f64_e64 v[10:11], v[36:37], -v[38:39]
	v_mul_f64_e32 v[22:23], v[8:9], v[88:89]
	v_mul_f64_e32 v[78:79], v[8:9], v[82:83]
	;; [unrolled: 1-line block ×3, first 2 shown]
	scratch_store_b64 off, v[0:1], off offset:168 ; 8-byte Folded Spill
	s_wait_xcnt 0x0
	v_mul_f64_e32 v[0:1], v[6:7], v[16:17]
	v_mul_f64_e32 v[6:7], v[70:71], v[30:31]
	;; [unrolled: 1-line block ×3, first 2 shown]
	scratch_store_b64 off, v[40:41], off offset:540 ; 8-byte Folded Spill
	v_mul_f64_e32 v[28:29], 0x3fb5555555555555, v[10:11]
	v_add_nc_u32_e32 v10, v2, v13
	v_mul_f64_e32 v[96:97], v[70:71], v[32:33]
	s_wait_xcnt 0x0
	v_mul_f64_e32 v[40:41], v[22:23], v[82:83]
	v_dual_add_nc_u32 v11, v63, v13 :: v_dual_add_nc_u32 v2, v2, v68
	scratch_store_b64 off, v[0:1], off offset:40 ; 8-byte Folded Spill
	s_wait_xcnt 0x0
	v_mul_f64_e32 v[0:1], v[30:31], v[82:83]
	scratch_store_b64 off, v[4:5], off offset:344 ; 8-byte Folded Spill
	v_mul_f64_e32 v[70:71], v[70:71], v[6:7]
	s_wait_xcnt 0x0
	v_add_f64_e64 v[4:5], v[80:81], -v[86:87]
	v_mul_f64_e32 v[6:7], v[48:49], v[26:27]
	v_mul_f64_e32 v[0:1], v[64:65], v[0:1]
	s_delay_alu instid0(VALU_DEP_3) | instskip(NEXT) | instid1(VALU_DEP_3)
	v_fma_f64 v[4:5], v[4:5], s[2:3], -v[28:29]
	v_mul_f64_e32 v[6:7], v[26:27], v[6:7]
	s_delay_alu instid0(VALU_DEP_3) | instskip(NEXT) | instid1(VALU_DEP_2)
	v_mul_f64_e32 v[0:1], v[82:83], v[0:1]
	v_mul_f64_e32 v[4:5], v[6:7], v[4:5]
	v_add_nc_u32_e32 v6, v69, v13
	v_add_nc_u32_e32 v7, v21, v13
	scratch_store_b64 off, v[0:1], off offset:548 ; 8-byte Folded Spill
	s_wait_xcnt 0x0
	v_add_f64_e64 v[0:1], v[98:99], -v[106:107]
	s_delay_alu instid0(VALU_DEP_1) | instskip(SKIP_4) | instid1(VALU_DEP_1)
	v_fma_f64 v[0:1], v[0:1], s[2:3], -v[8:9]
	s_wait_loadcnt 0x1
	scratch_store_b64 off, v[110:111], off offset:184 ; 8-byte Folded Spill
	s_wait_loadcnt 0x0
	v_mul_f64_e32 v[22:23], v[110:111], v[60:61]
	v_mul_f64_e32 v[8:9], v[60:61], v[22:23]
	s_delay_alu instid0(VALU_DEP_1)
	v_fma_f64 v[0:1], v[8:9], v[0:1], -v[4:5]
	s_clause 0x1
	scratch_store_b64 off, v[14:15], off offset:48
	scratch_store_b64 off, v[48:49], off offset:124
	s_clause 0x1
	global_load_b64 v[14:15], v10, s[12:13] scale_offset
	global_load_b64 v[10:11], v11, s[12:13] scale_offset
	scratch_store_b64 off, v[0:1], off offset:100 ; 8-byte Folded Spill
	s_wait_loadcnt 0x1
	scratch_store_b64 off, v[14:15], off offset:748 ; 8-byte Folded Spill
	s_wait_loadcnt 0x0
	scratch_store_b64 off, v[10:11], off offset:740 ; 8-byte Folded Spill
	s_wait_xcnt 0x2
	v_add_f64_e64 v[0:1], v[14:15], -v[10:11]
	s_clause 0x1
	global_load_b64 v[116:117], v6, s[12:13] scale_offset
	global_load_b64 v[80:81], v7, s[12:13] scale_offset
	s_wait_xcnt 0x1
	v_add_nc_u32_e32 v6, v69, v68
	s_wait_xcnt 0x0
	v_add_nc_u32_e32 v7, v21, v68
	v_mul_f64_e32 v[0:1], 0x3fb5555555555555, v[0:1]
	s_wait_loadcnt 0x0
	v_add_f64_e64 v[4:5], v[116:117], -v[80:81]
	s_delay_alu instid0(VALU_DEP_1)
	v_fma_f64 v[0:1], v[4:5], s[2:3], -v[0:1]
	v_add_nc_u32_e32 v4, v63, v68
	s_clause 0x1
	global_load_b64 v[124:125], v2, s[12:13] scale_offset
	global_load_b64 v[4:5], v4, s[12:13] scale_offset
	s_wait_xcnt 0x1
	v_add_nc_u32_e32 v2, v68, v75
	s_delay_alu instid0(VALU_DEP_1)
	v_add_nc_u32_e32 v28, v2, v20
	s_wait_loadcnt 0x0
	scratch_store_b64 off, v[4:5], off offset:756 ; 8-byte Folded Spill
	s_wait_xcnt 0x0
	v_add_f64_e64 v[4:5], v[124:125], -v[4:5]
	s_clause 0x1
	global_load_b64 v[58:59], v6, s[12:13] scale_offset
	global_load_b64 v[90:91], v7, s[12:13] scale_offset
	s_clause 0x1
	scratch_store_b32 off, v2, off offset:208
	scratch_store_b32 off, v28, off offset:272
	s_wait_xcnt 0x1
	v_add_nc_u32_e32 v2, s20, v28
	global_load_b64 v[38:39], v2, s[18:19] scale_offset
	global_load_b64 v[22:23], v113, s[16:17] scale_offset
	s_wait_xcnt 0x1
	v_add_nc_u32_e32 v2, v13, v75
	scratch_store_b32 off, v2, off offset:216 ; 4-byte Folded Spill
	s_wait_xcnt 0x0
	v_add_nc_u32_e32 v2, v2, v20
	s_delay_alu instid0(VALU_DEP_1)
	v_add_nc_u32_e32 v63, s20, v2
	scratch_store_b32 off, v2, off offset:140 ; 4-byte Folded Spill
	v_mul_f64_e32 v[4:5], 0x3fb5555555555555, v[4:5]
	s_wait_loadcnt 0x2
	v_add_f64_e64 v[6:7], v[58:59], -v[90:91]
	s_wait_loadcnt 0x0
	scratch_store_b64 off, v[22:23], off offset:56 ; 8-byte Folded Spill
	global_load_b64 v[18:19], v103, s[16:17] scale_offset
	global_load_b64 v[52:53], v63, s[18:19] scale_offset
	v_fma_f64 v[4:5], v[6:7], s[2:3], -v[4:5]
	v_mul_f64_e32 v[6:7], v[22:23], v[38:39]
	s_delay_alu instid0(VALU_DEP_1) | instskip(NEXT) | instid1(VALU_DEP_1)
	v_mul_f64_e32 v[6:7], v[38:39], v[6:7]
	v_mul_f64_e32 v[4:5], v[6:7], v[4:5]
	s_wait_loadcnt 0x0
	s_wait_xcnt 0x3
	v_mul_f64_e32 v[2:3], v[18:19], v[52:53]
	s_delay_alu instid0(VALU_DEP_1) | instskip(NEXT) | instid1(VALU_DEP_1)
	v_mul_f64_e32 v[2:3], v[52:53], v[2:3]
	v_fma_f64 v[0:1], v[2:3], v[0:1], -v[4:5]
	scratch_store_b64 off, v[0:1], off offset:108 ; 8-byte Folded Spill
	s_wait_xcnt 0x0
	v_add_nc_u32_e32 v0, -2, v12
	s_delay_alu instid0(VALU_DEP_1) | instskip(NEXT) | instid1(VALU_DEP_1)
	v_mul_lo_u32 v88, v0, s5
	v_dual_add_nc_u32 v2, s5, v88 :: v_dual_add_nc_u32 v13, v88, v119
	s_delay_alu instid0(VALU_DEP_1) | instskip(NEXT) | instid1(VALU_DEP_2)
	v_lshl_add_u32 v1, s5, 1, v2
	v_dual_add_nc_u32 v11, v2, v119 :: v_dual_add_nc_u32 v72, s4, v13
	s_delay_alu instid0(VALU_DEP_2) | instskip(NEXT) | instid1(VALU_DEP_2)
	v_dual_mov_b32 v3, v1 :: v_dual_add_nc_u32 v0, v1, v102
	v_dual_add_nc_u32 v1, v2, v102 :: v_dual_add_nc_u32 v16, s4, v11
	global_load_b64 v[84:85], v72, s[18:19] scale_offset
	v_add_nc_u32_e32 v75, s20, v72
	s_clause 0x1
	global_load_b64 v[14:15], v0, s[14:15] scale_offset
	global_load_b64 v[4:5], v0, s[16:17] scale_offset
	s_wait_xcnt 0x0
	v_dual_add_nc_u32 v0, v88, v102 :: v_dual_add_nc_u32 v73, v3, v119
	s_clause 0x1
	global_load_b64 v[20:21], v1, s[14:15] scale_offset
	global_load_b64 v[6:7], v1, s[16:17] scale_offset
	;; [unrolled: 1-line block ×3, first 2 shown]
	v_dual_mov_b32 v12, v3 :: v_dual_add_nc_u32 v83, s20, v16
	s_clause 0x1
	scratch_store_b64 off, v[18:19], off offset:116
	scratch_store_b32 off, v2, off offset:176
	s_clause 0x1
	global_load_b64 v[24:25], v0, s[14:15] scale_offset
	global_load_b64 v[8:9], v0, s[16:17] scale_offset
	s_wait_xcnt 0x0
	v_add_nc_u32_e32 v0, s4, v73
	scratch_store_b32 off, v12, off offset:244 ; 4-byte Folded Spill
	v_ashrrev_i32_e32 v17, 31, v16
	global_load_b64 v[34:35], v0, s[18:19] scale_offset
	v_dual_mov_b32 v82, v0 :: v_dual_add_nc_u32 v77, s20, v0
	s_wait_loadcnt 0x7
	scratch_store_b64 off, v[14:15], off offset:572 ; 8-byte Folded Spill
	s_wait_loadcnt 0x6
	scratch_store_b64 off, v[4:5], off offset:564 ; 8-byte Folded Spill
	s_wait_xcnt 0x2
	v_add_f64_e32 v[0:1], v[14:15], v[4:5]
	s_wait_xcnt 0x1
	v_add_nc_u32_e32 v14, s20, v13
	s_wait_loadcnt 0x5
	scratch_store_b64 off, v[20:21], off offset:32 ; 8-byte Folded Spill
	s_wait_loadcnt 0x4
	s_wait_xcnt 0x1
	v_add_f64_e32 v[4:5], v[20:21], v[6:7]
	scratch_store_b64 off, v[6:7], off offset:580 ; 8-byte Folded Spill
	s_wait_loadcnt 0x3
	scratch_store_b64 off, v[36:37], off offset:612 ; 8-byte Folded Spill
	v_ashrrev_i32_e32 v15, 31, v14
	s_wait_loadcnt 0x2
	scratch_store_b64 off, v[24:25], off offset:596 ; 8-byte Folded Spill
	s_wait_loadcnt 0x1
	scratch_store_b64 off, v[8:9], off offset:588 ; 8-byte Folded Spill
	v_add_f64_e32 v[2:3], v[24:25], v[8:9]
	s_wait_loadcnt 0x0
	s_clause 0x1
	scratch_store_b64 off, v[34:35], off offset:604
	scratch_store_b64 off, v[84:85], off offset:620
	s_clause 0x2
	global_load_b64 v[30:31], v77, s[18:19] scale_offset
	global_load_b64 v[68:69], v83, s[18:19] scale_offset
	global_load_b64 v[86:87], v75, s[18:19] scale_offset
	v_mul_f64_e32 v[120:121], v[0:1], v[34:35]
	s_wait_xcnt 0x8
	v_mul_f64_e32 v[6:7], v[2:3], v[84:85]
	s_wait_xcnt 0x3
	v_mul_f64_e32 v[84:85], v[4:5], v[36:37]
	s_wait_loadcnt 0x2
	s_delay_alu instid0(VALU_DEP_3) | instskip(SKIP_2) | instid1(VALU_DEP_3)
	v_mul_f64_e32 v[34:35], v[120:121], v[30:31]
	v_mov_b64_e32 v[36:37], v[30:31]
	s_wait_loadcnt 0x1
	v_fma_f64 v[8:9], v[84:85], v[68:69], v[40:41]
	v_mov_b64_e32 v[30:31], v[68:69]
	s_wait_loadcnt 0x0
	v_mov_b64_e32 v[20:21], v[86:87]
	s_delay_alu instid0(VALU_DEP_2) | instskip(SKIP_1) | instid1(VALU_DEP_3)
	v_mul_f64_e32 v[68:69], v[84:85], v[30:31]
	v_mul_f64_e32 v[106:107], v[4:5], v[30:31]
	;; [unrolled: 1-line block ×3, first 2 shown]
	v_fma_f64 v[94:95], v[6:7], v[86:87], v[34:35]
	v_fma_f64 v[6:7], v[6:7], v[20:21], v[40:41]
	s_delay_alu instid0(VALU_DEP_2) | instskip(SKIP_1) | instid1(VALU_DEP_3)
	v_fmac_f64_e32 v[94:95], 0x40080000, v[8:9]
	v_add_nc_u32_e32 v8, s20, v11
	v_fmamk_f64 v[6:7], v[6:7], 0xbfe80000, v[68:69]
	s_delay_alu instid0(VALU_DEP_2) | instskip(NEXT) | instid1(VALU_DEP_1)
	v_dual_mov_b32 v24, v8 :: v_dual_ashrrev_i32 v9, 31, v8
	v_lshl_add_u64 v[10:11], v[8:9], 3, s[12:13]
	s_clause 0x1
	scratch_store_b64 off, v[24:25], off offset:400
	scratch_store_b64 off, v[10:11], off offset:336
	s_clause 0x1
	global_load_b64 v[32:33], v62, s[12:13] scale_offset
	global_load_b128 v[8:11], v[10:11], off
	s_clause 0x1
	scratch_store_b64 off, v[20:21], off offset:636
	scratch_store_b64 off, v[30:31], off offset:628
	s_wait_loadcnt 0x0
	scratch_store_b128 off, v[8:11], off offset:360 ; 16-byte Folded Spill
	v_add_f64_e64 v[98:99], v[8:9], -v[32:33]
	s_wait_xcnt 0x0
	v_lshl_add_u64 v[10:11], v[14:15], 3, s[12:13]
	s_clause 0x1
	scratch_store_b64 off, v[14:15], off offset:492
	scratch_store_b64 off, v[10:11], off offset:376
	global_load_b128 v[84:87], v[10:11], off
	v_dual_mul_f64 v[8:9], v[94:95], v[98:99] :: v_dual_add_nc_u32 v94, s20, v73
	s_delay_alu instid0(VALU_DEP_1)
	v_dual_ashrrev_i32 v73, 31, v72 :: v_dual_ashrrev_i32 v95, 31, v94
	v_mul_f64_e32 v[114:115], v[0:1], v[36:37]
	v_lshl_add_u32 v0, s20, 2, v74
	global_load_b64 v[0:1], v0, s[18:19] scale_offset
	s_wait_loadcnt 0x1
	scratch_store_b128 off, v[84:87], off offset:384 ; 16-byte Folded Spill
	s_wait_xcnt 0x0
	v_add_f64_e64 v[84:85], v[84:85], -v[32:33]
	s_delay_alu instid0(VALU_DEP_1)
	v_fmac_f64_e32 v[8:9], v[6:7], v[84:85]
	s_wait_loadcnt 0x0
	scratch_store_b64 off, v[0:1], off offset:692 ; 8-byte Folded Spill
	s_wait_xcnt 0x0
	v_dual_mul_f64 v[122:123], v[78:79], v[0:1] :: v_dual_add_nc_u32 v0, s23, v94
	v_add_nc_u32_e32 v1, s23, v14
	global_load_b64 v[4:5], v0, s[18:19] scale_offset
	s_wait_xcnt 0x0
	v_add_nc_u32_e32 v0, s23, v24
	s_clause 0x1
	global_load_b64 v[6:7], v0, s[18:19] scale_offset
	global_load_b64 v[30:31], v1, s[18:19] scale_offset
	v_mov_b64_e32 v[86:87], v[8:9]
	s_wait_loadcnt 0x2
	v_mul_f64_e32 v[20:21], v[114:115], v[4:5]
	v_mov_b64_e32 v[24:25], v[4:5]
	s_wait_loadcnt 0x1
	s_wait_xcnt 0x0
	v_fma_f64 v[0:1], v[106:107], v[6:7], v[122:123]
	v_mul_f64_e32 v[10:11], v[106:107], v[6:7]
	v_mov_b64_e32 v[98:99], v[6:7]
	s_wait_loadcnt 0x0
	scratch_store_b64 off, v[30:31], off offset:24 ; 8-byte Folded Spill
	v_fma_f64 v[78:79], v[2:3], v[30:31], v[20:21]
	v_fma_f64 v[2:3], v[2:3], v[30:31], v[122:123]
	s_delay_alu instid0(VALU_DEP_2)
	v_fmac_f64_e32 v[78:79], 0x40080000, v[0:1]
	s_clause 0x1
	global_load_b64 v[0:1], v83, s[12:13] scale_offset
	global_load_b64 v[14:15], v118, s[12:13] scale_offset
	v_fmamk_f64 v[2:3], v[2:3], 0xbfe80000, v[10:11]
	s_wait_xcnt 0x1
	v_ashrrev_i32_e32 v83, 31, v82
	s_wait_loadcnt 0x0
	v_add_f64_e64 v[0:1], v[0:1], -v[14:15]
	s_delay_alu instid0(VALU_DEP_1)
	v_mul_f64_e32 v[0:1], v[78:79], v[0:1]
	global_load_b64 v[78:79], v75, s[12:13] scale_offset
	s_wait_xcnt 0x0
	v_ashrrev_i32_e32 v75, 31, v74
	s_wait_loadcnt 0x0
	v_add_f64_e64 v[78:79], v[78:79], -v[14:15]
	s_delay_alu instid0(VALU_DEP_1)
	v_fmac_f64_e32 v[0:1], v[2:3], v[78:79]
	v_lshl_add_u64 v[2:3], v[72:73], 3, s[12:13]
	scratch_store_b64 off, v[2:3], off offset:668 ; 8-byte Folded Spill
	global_load_b128 v[6:9], v[2:3], off offset:-16
	v_mov_b64_e32 v[30:31], v[0:1]
	v_add_nc_u32_e32 v0, s5, v12
	s_ashr_i32 s5, s4, 31
	s_delay_alu instid0(VALU_DEP_1) | instskip(NEXT) | instid1(VALU_DEP_1)
	v_dual_add_nc_u32 v89, v0, v119 :: v_dual_mov_b32 v29, v0
	v_add_nc_u32_e32 v78, s4, v89
	s_delay_alu instid0(VALU_DEP_1) | instskip(NEXT) | instid1(VALU_DEP_1)
	v_ashrrev_i32_e32 v79, 31, v78
	v_lshl_add_u64 v[0:1], v[78:79], 3, s[12:13]
	global_load_b128 v[2:5], v[0:1], off offset:-16
	scratch_store_b64 off, v[0:1], off offset:352 ; 8-byte Folded Spill
	s_wait_xcnt 0x0
	v_lshl_add_u64 v[0:1], v[82:83], 3, s[12:13]
	scratch_store_b64 off, v[0:1], off offset:448 ; 8-byte Folded Spill
	s_wait_loadcnt 0x0
	scratch_store_b128 off, v[2:5], off offset:432 ; 16-byte Folded Spill
	s_wait_xcnt 0x0
	v_add_f64_e64 v[2:3], v[2:3], -v[6:7]
	s_delay_alu instid0(VALU_DEP_1)
	v_mul_f64_e32 v[12:13], 0x3fb5555555555555, v[2:3]
	v_lshl_add_u64 v[2:3], v[16:17], 3, s[12:13]
	s_clause 0x1
	scratch_store_b64 off, v[82:83], off offset:500
	scratch_store_b64 off, v[2:3], off offset:700
	s_clause 0x1
	global_load_b128 v[82:85], v[2:3], off offset:-16
	global_load_b128 v[0:3], v[0:1], off offset:-16
	s_wait_loadcnt 0x1
	scratch_store_b128 off, v[82:85], off offset:652 ; 16-byte Folded Spill
	s_wait_loadcnt 0x0
	scratch_store_b128 off, v[0:3], off offset:456 ; 16-byte Folded Spill
	v_add_f64_e64 v[106:107], v[0:1], -v[82:83]
	v_add_f64_e64 v[118:119], v[2:3], -v[84:85]
	s_wait_xcnt 0x1
	v_mov_b64_e32 v[84:85], v[46:47]
	v_mov_b64_e32 v[82:83], v[44:45]
	global_load_b128 v[44:47], v[92:93], off offset:-16
	v_mul_f64_e32 v[96:97], v[82:83], v[96:97]
	s_wait_xcnt 0x1
	v_fma_f64 v[0:1], v[106:107], s[2:3], -v[12:13]
	v_add_f64_e64 v[106:107], v[4:5], -v[8:9]
	v_mul_f64_e32 v[12:13], v[84:85], v[50:51]
	s_delay_alu instid0(VALU_DEP_3) | instskip(NEXT) | instid1(VALU_DEP_3)
	v_mul_f64_e32 v[2:3], v[0:1], v[56:57]
	v_mul_f64_e32 v[106:107], 0x3fb5555555555555, v[106:107]
	v_add_nc_u32_e32 v57, v29, v102
	s_delay_alu instid0(VALU_DEP_2) | instskip(NEXT) | instid1(VALU_DEP_1)
	v_fma_f64 v[106:107], v[118:119], s[2:3], -v[106:107]
	v_mul_f64_e32 v[106:107], v[106:107], v[100:101]
	s_wait_loadcnt 0x0
	v_mul_f64_e32 v[0:1], v[44:45], v[2:3]
	s_clause 0x1
	scratch_load_b64 v[2:3], off, off offset:64 th:TH_LOAD_LU
	scratch_store_b128 off, v[6:9], off offset:676
	s_wait_xcnt 0x2
	v_fma_f64 v[92:93], v[44:45], v[104:105], v[12:13]
	v_mul_f64_e32 v[118:119], v[46:47], v[54:55]
	scratch_store_b64 off, v[0:1], off offset:320 ; 8-byte Folded Spill
	s_wait_xcnt 0x0
	v_mul_f64_e32 v[0:1], v[46:47], v[106:107]
	s_clause 0x1
	scratch_store_b64 off, v[98:99], off offset:716
	scratch_store_b32 off, v29, off offset:488
	v_fma_f64 v[106:107], v[46:47], v[54:55], v[96:97]
	scratch_store_b64 off, v[0:1], off offset:160 ; 8-byte Folded Spill
	s_wait_xcnt 0x0
	v_fma_f64 v[0:1], v[44:45], v[104:105], v[96:97]
	v_fmac_f64_e32 v[92:93], 0x40080000, v[106:107]
	s_delay_alu instid0(VALU_DEP_2)
	v_fmamk_f64 v[0:1], v[0:1], 0xbfe80000, v[118:119]
	s_wait_loadcnt 0x0
	v_add_nc_u64_e32 v[100:101], s[12:13], v[2:3]
	global_load_b128 v[44:47], v[100:101], off offset:-8
	s_wait_loadcnt 0x0
	v_add_f64_e64 v[44:45], v[44:45], -v[46:47]
	s_delay_alu instid0(VALU_DEP_1) | instskip(SKIP_1) | instid1(VALU_DEP_1)
	v_mul_f64_e32 v[6:7], v[92:93], v[44:45]
	v_add_nc_u64_e32 v[44:45], s[4:5], v[74:75]
	v_lshl_add_u64 v[44:45], v[44:45], 3, s[12:13]
	global_load_b64 v[44:45], v[44:45], off offset:-16
	s_wait_loadcnt 0x0
	v_add_f64_e64 v[44:45], v[44:45], -v[46:47]
	s_delay_alu instid0(VALU_DEP_1)
	v_fmac_f64_e32 v[6:7], v[0:1], v[44:45]
	global_load_b64 v[0:1], v112, s[14:15] scale_offset
	v_mov_b64_e32 v[106:107], v[6:7]
	s_wait_loadcnt 0x0
	v_fma_f64 v[6:7], 2.0, v[0:1], v[48:49]
	global_load_b64 v[0:1], v113, s[14:15] scale_offset
	s_wait_loadcnt 0x0
	v_fma_f64 v[2:3], 2.0, v[0:1], v[22:23]
	global_load_b64 v[0:1], v103, s[14:15] scale_offset
	s_clause 0x1
	scratch_store_b64 off, v[16:17], off offset:644
	scratch_store_b64 off, v[6:7], off offset:248
	s_wait_xcnt 0x1
	v_add_nc_u32_e32 v16, s4, v28
	scratch_store_b64 off, v[2:3], off offset:228 ; 8-byte Folded Spill
	v_mul_f64_e32 v[44:45], v[2:3], v[38:39]
	s_delay_alu instid0(VALU_DEP_1)
	v_mul_f64_e32 v[74:75], v[38:39], v[44:45]
	s_wait_loadcnt 0x0
	v_fma_f64 v[22:23], 2.0, v[0:1], v[18:19]
	v_mul_f64_e32 v[0:1], v[6:7], v[26:27]
	s_clause 0x1
	scratch_store_b64 off, v[22:23], off offset:276
	scratch_store_b64 off, v[26:27], off offset:236
	v_mul_f64_e32 v[18:19], v[26:27], v[0:1]
	v_mul_f64_e32 v[44:45], v[22:23], v[52:53]
	s_clause 0x2
	scratch_store_b64 off, v[38:39], off offset:8
	scratch_store_b64 off, v[52:53], off offset:16
	scratch_store_b32 off, v16, off offset:64
	s_wait_xcnt 0x3
	v_mov_b64_e32 v[26:27], v[24:25]
	global_load_b128 v[0:3], v[108:109], off offset:-16
	global_load_b64 v[4:5], v57, s[16:17] scale_offset
	v_mul_f64_e32 v[6:7], v[52:53], v[44:45]
	v_mul_f64_e32 v[44:45], v[64:65], v[70:71]
	s_delay_alu instid0(VALU_DEP_2) | instskip(NEXT) | instid1(VALU_DEP_2)
	v_mul_f64_e32 v[92:93], v[66:67], v[6:7]
	v_fma_f64 v[6:7], v[66:67], v[6:7], v[44:45]
	s_wait_loadcnt 0x1
	s_delay_alu instid0(VALU_DEP_2)
	v_fma_f64 v[70:71], v[0:1], v[18:19], v[92:93]
	s_wait_xcnt 0x1
	v_fma_f64 v[108:109], v[2:3], v[74:75], v[44:45]
	v_mul_f64_e32 v[112:113], v[2:3], v[74:75]
	v_fma_f64 v[18:19], v[0:1], v[18:19], v[44:45]
	s_wait_loadcnt 0x0
	scratch_store_b64 off, v[4:5], off offset:472 ; 8-byte Folded Spill
	v_fmac_f64_e32 v[70:71], 0x40080000, v[108:109]
	global_load_b64 v[108:109], v16, s[12:13] scale_offset
	s_wait_xcnt 0x0
	v_add_nc_u32_e32 v16, s4, v127
	scratch_store_b128 off, v[0:3], off offset:256 ; 16-byte Folded Spill
	s_wait_xcnt 0x0
	v_fmamk_f64 v[0:1], v[18:19], 0xbfe80000, v[112:113]
	s_load_b128 s[4:7], s[0:1], 0x60
	scratch_store_b32 off, v16, off offset:156 ; 4-byte Folded Spill
	s_wait_loadcnt 0x0
	v_add_f64_e64 v[108:109], v[108:109], -v[46:47]
	s_delay_alu instid0(VALU_DEP_1)
	v_mul_f64_e32 v[22:23], v[70:71], v[108:109]
	global_load_b64 v[70:71], v16, s[12:13] scale_offset
	global_load_b64 v[16:17], v57, s[14:15] scale_offset
	s_wait_xcnt 0x0
	v_add_nc_u32_e32 v57, s20, v78
	s_wait_loadcnt 0x1
	v_add_f64_e64 v[70:71], v[70:71], -v[46:47]
	s_wait_loadcnt 0x0
	scratch_store_b64 off, v[16:17], off offset:508 ; 8-byte Folded Spill
	s_clause 0x1
	global_load_b64 v[108:109], v78, s[18:19] scale_offset
	global_load_b64 v[74:75], v57, s[18:19] scale_offset
	scratch_store_b64 off, v[26:27], off offset:724 ; 8-byte Folded Spill
	v_fmac_f64_e32 v[22:23], v[0:1], v[70:71]
	v_add_f64_e32 v[70:71], v[16:17], v[4:5]
	v_fma_f64 v[0:1], v[120:121], v[36:37], v[40:41]
	s_delay_alu instid0(VALU_DEP_3)
	v_mov_b64_e32 v[2:3], v[22:23]
	v_add_f64_e64 v[22:23], v[116:117], -v[58:59]
	v_mov_b64_e32 v[58:59], v[36:37]
	s_wait_loadcnt 0x1
	v_mul_f64_e32 v[102:103], v[70:71], v[108:109]
	s_wait_loadcnt 0x0
	s_delay_alu instid0(VALU_DEP_1) | instskip(SKIP_1) | instid1(VALU_DEP_2)
	v_fmac_f64_e32 v[68:69], v[102:103], v[74:75]
	v_fmac_f64_e32 v[40:41], v[102:103], v[74:75]
	;; [unrolled: 1-line block ×3, first 2 shown]
	v_lshl_add_u64 v[0:1], v[94:95], 3, s[12:13]
	global_load_b128 v[16:19], v[0:1], off
	scratch_store_b64 off, v[0:1], off offset:424 ; 8-byte Folded Spill
	s_wait_loadcnt 0x0
	scratch_store_b128 off, v[16:19], off offset:408 ; 16-byte Folded Spill
	s_wait_xcnt 0x1
	v_add_f64_e64 v[0:1], v[16:17], -v[32:33]
	s_delay_alu instid0(VALU_DEP_1)
	v_fmac_f64_e32 v[86:87], v[68:69], v[0:1]
	v_dual_mul_f64 v[0:1], v[70:71], v[74:75] :: v_dual_add_nc_u32 v70, s20, v89
	v_fma_f64 v[68:69], v[114:115], v[24:25], v[122:123]
	v_add_f64_e64 v[24:25], v[80:81], -v[90:91]
	v_add_nc_u32_e32 v89, s20, v63
	v_fmac_f64_e32 v[34:35], 0xbfe80000, v[40:41]
	v_add_nc_u32_e32 v71, s23, v70
	global_load_b64 v[16:17], v71, s[18:19] scale_offset
	s_wait_xcnt 0x0
	v_ashrrev_i32_e32 v71, 31, v70
	s_wait_loadcnt 0x0
	v_fmac_f64_e32 v[10:11], v[0:1], v[16:17]
	v_mov_b64_e32 v[28:29], v[16:17]
	v_fma_f64 v[16:17], v[84:85], v[50:51], v[96:97]
	s_delay_alu instid0(VALU_DEP_2) | instskip(NEXT) | instid1(VALU_DEP_4)
	v_fmac_f64_e32 v[122:123], v[0:1], v[28:29]
	v_fmac_f64_e32 v[10:11], 0x40080000, v[68:69]
	global_load_b64 v[68:69], v77, s[12:13] scale_offset
	s_clause 0x1
	scratch_load_b64 v[4:5], off, off offset:220 th:TH_LOAD_LU
	scratch_load_b64 v[8:9], off, off offset:312 th:TH_LOAD_LU
	v_fmac_f64_e32 v[20:21], 0xbfe80000, v[122:123]
	s_wait_loadcnt 0x2
	v_add_f64_e64 v[68:69], v[68:69], -v[14:15]
	s_wait_loadcnt 0x0
	v_add_f64_e64 v[4:5], v[8:9], -v[4:5]
	s_delay_alu instid0(VALU_DEP_2) | instskip(SKIP_4) | instid1(VALU_DEP_1)
	v_fmac_f64_e32 v[30:31], v[10:11], v[68:69]
	s_clause 0x1
	scratch_load_b64 v[8:9], off, off offset:200 th:TH_LOAD_LU
	scratch_load_b64 v[10:11], off, off offset:296 th:TH_LOAD_LU
	v_mul_f64_e32 v[4:5], 0x3fb5555555555555, v[4:5]
	v_fma_f64 v[4:5], v[24:25], s[2:3], -v[4:5]
	s_delay_alu instid0(VALU_DEP_1) | instskip(SKIP_2) | instid1(VALU_DEP_1)
	v_mul_f64_e32 v[4:5], v[54:55], v[4:5]
	s_wait_loadcnt 0x0
	v_add_f64_e64 v[38:39], v[10:11], -v[8:9]
	v_mul_f64_e32 v[24:25], 0x3fb5555555555555, v[38:39]
	s_delay_alu instid0(VALU_DEP_1) | instskip(NEXT) | instid1(VALU_DEP_1)
	v_fma_f64 v[22:23], v[22:23], s[2:3], -v[24:25]
	v_fma_f64 v[4:5], v[50:51], v[22:23], -v[4:5]
	s_clause 0x1
	scratch_store_b64 off, v[4:5], off offset:220
	scratch_load_b32 v4, off, off offset:84 th:TH_LOAD_LU
	s_wait_loadcnt 0x0
	v_add_nc_u32_e32 v4, v4, v126
	global_load_b64 v[126:127], v76, s[24:25] offset:16 scale_offset
	global_load_b64 v[90:91], v62, s[18:19] offset:16 scale_offset
	global_load_b64 v[114:115], v4, s[14:15] scale_offset
	s_wait_loadcnt 0x0
	v_mul_f64_e32 v[4:5], v[114:115], v[90:91]
	s_delay_alu instid0(VALU_DEP_1) | instskip(NEXT) | instid1(VALU_DEP_1)
	v_mul_f64_e32 v[4:5], v[90:91], v[4:5]
	v_fmac_f64_e32 v[118:119], v[126:127], v[4:5]
	v_fmac_f64_e32 v[96:97], v[126:127], v[4:5]
	s_delay_alu instid0(VALU_DEP_2) | instskip(SKIP_4) | instid1(VALU_DEP_1)
	v_fmac_f64_e32 v[118:119], 0x40080000, v[16:17]
	global_load_b128 v[16:19], v[100:101], off offset:8
	v_fmac_f64_e32 v[12:13], 0xbfe80000, v[96:97]
	s_wait_loadcnt 0x0
	v_add_f64_e64 v[16:17], v[16:17], -v[46:47]
	v_fmac_f64_e32 v[106:107], v[118:119], v[16:17]
	global_load_b64 v[22:23], v42, s[26:27] offset:16 scale_offset
	global_load_b64 v[16:17], v43, s[14:15] scale_offset
	s_wait_loadcnt 0x0
	v_fma_f64 v[16:17], 2.0, v[16:17], v[110:111]
	s_clause 0x1
	scratch_store_b64 off, v[16:17], off offset:200
	scratch_store_b64 off, v[60:61], off offset:192
	s_wait_xcnt 0x1
	v_mul_f64_e32 v[16:17], v[16:17], v[60:61]
	global_load_b64 v[0:1], v57, s[12:13] scale_offset
	v_mul_f64_e32 v[38:39], v[60:61], v[16:17]
	v_mul_f64_e32 v[16:17], v[26:27], v[26:27]
	s_wait_xcnt 0x1
	v_mov_b64_e32 v[60:61], v[28:29]
	s_delay_alu instid0(VALU_DEP_3) | instskip(SKIP_1) | instid1(VALU_DEP_2)
	v_fmac_f64_e32 v[112:113], v[22:23], v[38:39]
	v_fmac_f64_e32 v[44:45], v[22:23], v[38:39]
	;; [unrolled: 1-line block ×3, first 2 shown]
	global_load_b64 v[6:7], v89, s[12:13] scale_offset
	v_fmac_f64_e32 v[92:93], 0xbfe80000, v[44:45]
	s_wait_loadcnt 0x1
	v_add_f64_e64 v[0:1], v[0:1], -v[14:15]
	s_delay_alu instid0(VALU_DEP_1) | instskip(SKIP_3) | instid1(VALU_DEP_1)
	v_fmac_f64_e32 v[30:31], v[20:21], v[0:1]
	scratch_store_b64 off, v[30:31], off offset:296 ; 8-byte Folded Spill
	s_wait_loadcnt 0x0
	v_add_f64_e64 v[6:7], v[6:7], -v[46:47]
	v_fmac_f64_e32 v[2:3], v[112:113], v[6:7]
	s_delay_alu instid0(VALU_DEP_1)
	v_mov_b64_e32 v[24:25], v[2:3]
	v_lshl_add_u64 v[2:3], v[70:71], 3, s[12:13]
	global_load_b128 v[6:9], v[2:3], off
	scratch_store_b64 off, v[22:23], off offset:708 ; 8-byte Folded Spill
	s_wait_loadcnt 0x0
	scratch_store_b128 off, v[6:9], off offset:516 ; 16-byte Folded Spill
	s_wait_xcnt 0x0
	v_add_f64_e64 v[6:7], v[6:7], -v[32:33]
	s_delay_alu instid0(VALU_DEP_1)
	v_fmac_f64_e32 v[86:87], v[34:35], v[6:7]
	s_clause 0x3
	scratch_store_b64 off, v[2:3], off offset:532
	scratch_store_b64 off, v[86:87], off offset:312
	scratch_load_b64 v[0:1], off, off offset:284 th:TH_LOAD_LU
	scratch_load_b64 v[2:3], off, off offset:732 th:TH_LOAD_LU
	s_wait_loadcnt 0x0
	v_add_f64_e64 v[0:1], v[2:3], -v[0:1]
	s_clause 0x1
	scratch_load_b64 v[2:3], off, off offset:92 th:TH_LOAD_LU
	scratch_load_b64 v[6:7], off, off offset:328 th:TH_LOAD_LU
	v_mul_f64_e32 v[0:1], 0x3fb5555555555555, v[0:1]
	s_wait_loadcnt 0x0
	v_add_f64_e64 v[6:7], v[6:7], -v[2:3]
	scratch_load_b64 v[2:3], off, off offset:748 th:TH_LOAD_LU ; 8-byte Folded Reload
	v_mul_f64_e32 v[6:7], 0x3fb5555555555555, v[6:7]
	s_wait_loadcnt 0x0
	v_add_f64_e64 v[8:9], v[2:3], -v[124:125]
	s_clause 0x4
	scratch_load_b64 v[2:3], off, off offset:740 th:TH_LOAD_LU
	scratch_load_b64 v[10:11], off, off offset:756 th:TH_LOAD_LU
	;; [unrolled: 1-line block ×5, first 2 shown]
	v_fma_f64 v[6:7], v[8:9], s[2:3], -v[6:7]
	v_mul_f64_e32 v[8:9], v[82:83], v[64:65]
	s_wait_loadcnt 0x3
	v_add_f64_e64 v[10:11], v[2:3], -v[10:11]
	s_delay_alu instid0(VALU_DEP_1) | instskip(SKIP_1) | instid1(VALU_DEP_2)
	v_fma_f64 v[0:1], v[10:11], s[2:3], -v[0:1]
	v_mul_f64_e32 v[10:11], v[98:99], v[98:99]
	v_mul_f64_e32 v[0:1], v[104:105], v[0:1]
	v_mov_b64_e32 v[104:105], v[84:85]
	v_mov_b64_e32 v[102:103], v[82:83]
	s_delay_alu instid0(VALU_DEP_3) | instskip(SKIP_3) | instid1(VALU_DEP_1)
	v_fma_f64 v[0:1], v[4:5], v[6:7], -v[0:1]
	scratch_store_b64 off, v[0:1], off offset:284 ; 8-byte Folded Spill
	s_wait_xcnt 0x0
	v_add_f64_e64 v[0:1], v[18:19], -v[46:47]
	v_fmac_f64_e32 v[106:107], v[12:13], v[0:1]
	s_clause 0x1
	scratch_load_b32 v0, off, off offset:76 th:TH_LOAD_LU
	scratch_store_b64 off, v[8:9], off offset:76
	s_wait_loadcnt 0x0
	s_wait_kmcnt 0x0
	global_load_b64 v[6:7], v0, s[4:5] scale_offset
	scratch_store_b64 off, v[106:107], off offset:328 ; 8-byte Folded Spill
	s_wait_loadcnt 0x0
	scratch_store_b64 off, v[6:7], off offset:84 ; 8-byte Folded Spill
	s_wait_xcnt 0x2
	v_div_scale_f64 v[0:1], null, v[6:7], v[6:7], v[8:9]
	s_delay_alu instid0(VALU_DEP_1) | instskip(SKIP_1) | instid1(TRANS32_DEP_1)
	v_rcp_f64_e32 v[2:3], v[0:1]
	v_nop
	v_fma_f64 v[4:5], -v[0:1], v[2:3], 1.0
	s_delay_alu instid0(VALU_DEP_1) | instskip(NEXT) | instid1(VALU_DEP_1)
	v_fmac_f64_e32 v[2:3], v[2:3], v[4:5]
	v_fma_f64 v[4:5], -v[0:1], v[2:3], 1.0
	s_delay_alu instid0(VALU_DEP_1) | instskip(SKIP_2) | instid1(VALU_DEP_1)
	v_fmac_f64_e32 v[2:3], v[2:3], v[4:5]
	v_div_scale_f64 v[4:5], vcc_lo, v[8:9], v[6:7], v[8:9]
	s_wait_xcnt 0x0
	v_mul_f64_e32 v[6:7], v[4:5], v[2:3]
	s_delay_alu instid0(VALU_DEP_1) | instskip(NEXT) | instid1(VALU_DEP_1)
	v_fma_f64 v[0:1], -v[0:1], v[6:7], v[4:5]
	v_div_fmas_f64 v[0:1], v[0:1], v[2:3], v[6:7]
	scratch_store_b64 off, v[0:1], off offset:92 ; 8-byte Folded Spill
	s_wait_xcnt 0x0
	v_div_scale_f64 v[0:1], null, v[64:65], v[64:65], 1.0
	s_delay_alu instid0(VALU_DEP_1) | instskip(SKIP_1) | instid1(TRANS32_DEP_1)
	v_rcp_f64_e32 v[2:3], v[0:1]
	v_nop
	v_fma_f64 v[4:5], -v[0:1], v[2:3], 1.0
	s_delay_alu instid0(VALU_DEP_1) | instskip(NEXT) | instid1(VALU_DEP_1)
	v_fmac_f64_e32 v[2:3], v[2:3], v[4:5]
	v_fma_f64 v[4:5], -v[0:1], v[2:3], 1.0
	s_delay_alu instid0(VALU_DEP_1) | instskip(SKIP_1) | instid1(VALU_DEP_1)
	v_fmac_f64_e32 v[2:3], v[2:3], v[4:5]
	v_div_scale_f64 v[4:5], vcc_lo, 1.0, v[64:65], 1.0
	v_mul_f64_e32 v[6:7], v[4:5], v[2:3]
	s_delay_alu instid0(VALU_DEP_1) | instskip(NEXT) | instid1(VALU_DEP_1)
	v_fma_f64 v[0:1], -v[0:1], v[6:7], v[4:5]
	v_div_fmas_f64 v[4:5], v[0:1], v[2:3], v[6:7]
	v_div_scale_f64 v[0:1], null, v[82:83], v[82:83], 1.0
	s_delay_alu instid0(VALU_DEP_1) | instskip(SKIP_1) | instid1(TRANS32_DEP_1)
	v_rcp_f64_e32 v[2:3], v[0:1]
	v_nop
	v_fma_f64 v[6:7], -v[0:1], v[2:3], 1.0
	s_delay_alu instid0(VALU_DEP_1) | instskip(NEXT) | instid1(VALU_DEP_1)
	v_fmac_f64_e32 v[2:3], v[2:3], v[6:7]
	v_fma_f64 v[6:7], -v[0:1], v[2:3], 1.0
	s_delay_alu instid0(VALU_DEP_1) | instskip(SKIP_1) | instid1(VALU_DEP_1)
	v_fmac_f64_e32 v[2:3], v[2:3], v[6:7]
	v_div_scale_f64 v[6:7], vcc_lo, 1.0, v[82:83], 1.0
	v_mul_f64_e32 v[8:9], v[6:7], v[2:3]
	s_delay_alu instid0(VALU_DEP_1)
	v_fma_f64 v[0:1], -v[0:1], v[8:9], v[6:7]
	scratch_load_b64 v[6:7], off, off offset:24 ; 8-byte Folded Reload
	v_div_fmas_f64 v[2:3], v[0:1], v[2:3], v[8:9]
	s_wait_loadcnt 0x0
	v_mul_f64_e32 v[8:9], v[6:7], v[6:7]
	scratch_load_b64 v[6:7], off, off offset:556 th:TH_LOAD_LU ; 8-byte Folded Reload
	v_mul_f64_e32 v[0:1], v[82:83], v[76:77]
	s_delay_alu instid0(VALU_DEP_1) | instskip(NEXT) | instid1(VALU_DEP_1)
	v_mul_f64_e32 v[0:1], v[76:77], v[0:1]
	v_fmac_f64_e32 v[8:9], v[82:83], v[0:1]
	v_mul_f64_e32 v[0:1], v[82:83], v[116:117]
	s_delay_alu instid0(VALU_DEP_1) | instskip(NEXT) | instid1(VALU_DEP_1)
	v_mul_f64_e32 v[0:1], v[116:117], v[0:1]
	v_fmac_f64_e32 v[10:11], v[82:83], v[0:1]
	scratch_load_b64 v[0:1], off, off offset:692 th:TH_LOAD_LU ; 8-byte Folded Reload
	s_wait_loadcnt 0x0
	v_mul_f64_e32 v[0:1], v[0:1], v[0:1]
	s_delay_alu instid0(VALU_DEP_1) | instskip(SKIP_1) | instid1(VALU_DEP_1)
	v_fmac_f64_e32 v[0:1], v[82:83], v[6:7]
	v_mul_f64_e32 v[6:7], v[82:83], v[68:69]
	v_mul_f64_e32 v[6:7], v[68:69], v[6:7]
	s_delay_alu instid0(VALU_DEP_1)
	v_fmac_f64_e32 v[16:17], v[82:83], v[6:7]
	s_clause 0x8
	scratch_load_b64 v[6:7], off, off offset:540 th:TH_LOAD_LU
	scratch_load_b64 v[106:107], off, off offset:596 th:TH_LOAD_LU
	;; [unrolled: 1-line block ×4, first 2 shown]
	scratch_load_b64 v[122:123], off, off offset:32
	scratch_load_b64 v[100:101], off, off offset:580 th:TH_LOAD_LU
	scratch_load_b64 v[96:97], off, off offset:628 th:TH_LOAD_LU
	scratch_load_b64 v[120:121], off, off offset:572 th:TH_LOAD_LU
	scratch_load_b64 v[80:81], off, off offset:564 th:TH_LOAD_LU
	s_wait_loadcnt 0x7
	v_mul_f64_e32 v[8:9], v[106:107], v[8:9]
	v_mov_b64_e32 v[82:83], v[106:107]
	v_mul_f64_e32 v[14:15], v[6:7], v[0:1]
	s_wait_loadcnt 0x6
	v_fma_f64 v[0:1], 2.0, v[106:107], v[118:119]
	s_wait_loadcnt 0x1
	v_mul_f64_e32 v[16:17], v[120:121], v[16:17]
	v_mov_b64_e32 v[106:107], v[60:61]
	v_mov_b64_e32 v[84:85], v[120:121]
	s_delay_alu instid0(VALU_DEP_4) | instskip(NEXT) | instid1(VALU_DEP_1)
	v_mul_f64_e32 v[6:7], v[0:1], v[112:113]
	v_mul_f64_e32 v[0:1], v[64:65], v[6:7]
	s_delay_alu instid0(VALU_DEP_1) | instskip(NEXT) | instid1(VALU_DEP_1)
	v_mul_f64_e32 v[0:1], v[112:113], v[0:1]
	v_fmac_f64_e32 v[8:9], v[64:65], v[0:1]
	v_fma_f64 v[0:1], 2.0, v[122:123], v[100:101]
	s_delay_alu instid0(VALU_DEP_1) | instskip(NEXT) | instid1(VALU_DEP_1)
	v_mul_f64_e32 v[20:21], v[0:1], v[96:97]
	v_mul_f64_e32 v[0:1], v[64:65], v[20:21]
	s_delay_alu instid0(VALU_DEP_1) | instskip(SKIP_4) | instid1(VALU_DEP_3)
	v_mul_f64_e32 v[12:13], v[96:97], v[0:1]
	v_mul_f64_e32 v[0:1], v[122:123], v[10:11]
	s_wait_loadcnt 0x0
	v_fma_f64 v[10:11], 2.0, v[120:121], v[80:81]
	v_mov_b64_e32 v[120:121], v[82:83]
	v_fmac_f64_e32 v[0:1], v[64:65], v[12:13]
	s_delay_alu instid0(VALU_DEP_3) | instskip(NEXT) | instid1(VALU_DEP_1)
	v_mul_f64_e32 v[12:13], v[10:11], v[36:37]
	v_mul_f64_e32 v[10:11], v[64:65], v[12:13]
	s_delay_alu instid0(VALU_DEP_1) | instskip(NEXT) | instid1(VALU_DEP_1)
	v_mul_f64_e32 v[10:11], v[36:37], v[10:11]
	v_fmac_f64_e32 v[16:17], v[64:65], v[10:11]
	scratch_load_b64 v[10:11], off, off offset:548 th:TH_LOAD_LU ; 8-byte Folded Reload
	s_wait_loadcnt 0x0
	v_fmac_f64_e32 v[14:15], v[64:65], v[10:11]
	v_add_f64_e32 v[10:11], v[8:9], v[16:17]
	s_delay_alu instid0(VALU_DEP_2) | instskip(SKIP_1) | instid1(VALU_DEP_2)
	v_add_f64_e32 v[18:19], v[0:1], v[14:15]
	v_add_f64_e32 v[8:9], v[8:9], v[14:15]
	v_fmac_f64_e32 v[10:11], 0x40080000, v[18:19]
	scratch_load_b64 v[18:19], off, off offset:700 th:TH_LOAD_LU ; 8-byte Folded Reload
	v_fmamk_f64 v[8:9], v[8:9], 0xbfe80000, v[0:1]
	s_wait_loadcnt 0x0
	global_load_b128 v[48:51], v[18:19], off
	s_wait_loadcnt 0x0
	v_add_f64_e64 v[18:19], v[48:49], -v[46:47]
	s_delay_alu instid0(VALU_DEP_1)
	v_mul_f64_e32 v[62:63], v[18:19], v[10:11]
	scratch_load_b64 v[10:11], off, off offset:668 th:TH_LOAD_LU ; 8-byte Folded Reload
	s_wait_loadcnt 0x0
	global_load_b128 v[52:55], v[10:11], off
	s_wait_loadcnt 0x0
	v_add_f64_e64 v[10:11], v[52:53], -v[46:47]
	s_delay_alu instid0(VALU_DEP_1)
	v_fmac_f64_e32 v[62:63], v[10:11], v[8:9]
	scratch_load_b32 v8, off, off offset:480 th:TH_LOAD_LU ; 4-byte Folded Reload
	s_wait_loadcnt 0x0
	v_add_nc_u32_e32 v86, s20, v8
	global_load_b64 v[8:9], v86, s[12:13] scale_offset
	s_wait_loadcnt 0x0
	v_add_f64_e64 v[8:9], v[8:9], -v[46:47]
	s_delay_alu instid0(VALU_DEP_1)
	v_fmac_f64_e32 v[24:25], v[92:93], v[8:9]
	scratch_store_b64 off, v[24:25], off offset:480 ; 8-byte Folded Spill
	global_load_b64 v[22:23], v72, s[12:13] offset:16 scale_offset
	s_clause 0x1
	scratch_load_b128 v[8:11], off, off offset:676 th:TH_LOAD_LU
	scratch_load_b64 v[18:19], off, off offset:644 th:TH_LOAD_LU
	s_wait_loadcnt 0x0
	global_load_b64 v[18:19], v18, s[12:13] offset:16 scale_offset
	s_clause 0x1
	scratch_load_b128 v[24:27], off, off offset:652 th:TH_LOAD_LU
	scratch_load_b64 v[28:29], off, off offset:500 th:TH_LOAD_LU
	v_add_f64_e64 v[8:9], v[22:23], -v[8:9]
	v_add_f64_e64 v[10:11], v[54:55], -v[10:11]
	s_wait_loadcnt 0x0
	global_load_b64 v[42:43], v28, s[12:13] offset:16 scale_offset
	scratch_load_b64 v[28:29], off, off offset:448 th:TH_LOAD_LU ; 8-byte Folded Reload
	v_add_f64_e64 v[24:25], v[18:19], -v[24:25]
	v_mul_f64_e32 v[8:9], 0x3fb5555555555555, v[8:9]
	v_add_f64_e64 v[26:27], v[50:51], -v[26:27]
	s_wait_loadcnt 0x0
	global_load_b128 v[28:31], v[28:29], off
	scratch_load_b128 v[34:37], off, off offset:456 th:TH_LOAD_LU ; 16-byte Folded Reload
	v_fma_f64 v[8:9], v[10:11], s[2:3], -v[8:9]
	v_mul_f64_e32 v[10:11], 0x3fb5555555555555, v[24:25]
	v_add_f64_e64 v[18:19], v[42:43], -v[18:19]
	scratch_load_b64 v[60:61], off, off offset:492 th:TH_LOAD_LU ; 8-byte Folded Reload
	global_load_b64 v[56:57], v78, s[12:13] offset:16 scale_offset
	scratch_load_b64 v[48:49], off, off offset:400 th:TH_LOAD_LU ; 8-byte Folded Reload
	v_fma_f64 v[10:11], v[26:27], s[2:3], -v[10:11]
	s_wait_loadcnt 0x4
	v_add_f64_e64 v[38:39], v[30:31], -v[50:51]
	s_wait_loadcnt 0x3
	v_add_f64_e64 v[36:37], v[30:31], -v[36:37]
	scratch_load_b64 v[30:31], off, off offset:352 th:TH_LOAD_LU ; 8-byte Folded Reload
	s_wait_xcnt 0x5
	v_add_f64_e64 v[28:29], v[28:29], -v[46:47]
	v_add_f64_e64 v[34:35], v[42:43], -v[34:35]
	v_mul_f64_e32 v[50:51], v[106:107], v[106:107]
	s_wait_loadcnt 0x2
	v_add_f64_e64 v[22:23], v[56:57], -v[22:23]
	s_delay_alu instid0(VALU_DEP_3) | instskip(NEXT) | instid1(VALU_DEP_2)
	v_mul_f64_e32 v[24:25], 0x3fb5555555555555, v[34:35]
	v_mul_f64_e32 v[22:23], 0x3fb5555555555555, v[22:23]
	s_delay_alu instid0(VALU_DEP_2)
	v_fma_f64 v[24:25], v[36:37], s[2:3], -v[24:25]
	v_mul_f64_e32 v[36:37], v[122:123], v[116:117]
	scratch_load_b64 v[116:117], off, off offset:508 th:TH_LOAD_LU ; 8-byte Folded Reload
	v_fma_f64 v[18:19], v[18:19], s[2:3], -v[22:23]
	v_mov_b64_e32 v[122:123], v[84:85]
	s_wait_loadcnt 0x1
	global_load_b128 v[30:33], v[30:31], off
	s_wait_loadcnt 0x0
	v_add_f64_e64 v[30:31], v[30:31], -v[46:47]
	scratch_load_b128 v[44:47], off, off offset:432 th:TH_LOAD_LU ; 16-byte Folded Reload
	v_add_f64_e64 v[40:41], v[32:33], -v[54:55]
	s_delay_alu instid0(VALU_DEP_1)
	v_mul_f64_e32 v[26:27], 0x3fb5555555555555, v[40:41]
	v_mul_f64_e32 v[40:41], v[84:85], v[68:69]
	global_load_b64 v[68:69], v48, s[18:19] scale_offset
	v_fma_f64 v[26:27], v[38:39], s[2:3], -v[26:27]
	s_wait_loadcnt 0x1
	v_add_f64_e64 v[44:45], v[56:57], -v[44:45]
	v_add_f64_e64 v[32:33], v[32:33], -v[46:47]
	v_mul_f64_e32 v[46:47], v[102:103], v[108:109]
	s_delay_alu instid0(VALU_DEP_3) | instskip(SKIP_1) | instid1(VALU_DEP_3)
	v_mul_f64_e32 v[34:35], 0x3fb5555555555555, v[44:45]
	v_mul_f64_e32 v[44:45], v[116:117], v[108:109]
	;; [unrolled: 1-line block ×3, first 2 shown]
	s_wait_loadcnt 0x0
	v_mul_f64_e32 v[20:21], v[20:21], v[68:69]
	s_delay_alu instid0(VALU_DEP_4)
	v_fma_f64 v[32:33], v[32:33], s[2:3], -v[34:35]
	scratch_load_b64 v[34:35], off, off offset:344 th:TH_LOAD_LU ; 8-byte Folded Reload
	v_fmac_f64_e32 v[50:51], v[102:103], v[46:47]
	v_mul_f64_e32 v[46:47], v[36:37], v[68:69]
	global_load_b64 v[36:37], v70, s[18:19] scale_offset
	v_mul_f64_e32 v[10:11], v[46:47], v[10:11]
	s_wait_loadcnt 0x1
	v_mul_f64_e32 v[38:39], v[26:27], v[34:35]
	global_load_b64 v[26:27], v60, s[18:19] scale_offset
	v_mul_f64_e32 v[34:35], v[82:83], v[76:77]
	s_wait_loadcnt 0x0
	s_delay_alu instid0(VALU_DEP_1)
	v_mul_f64_e32 v[54:55], v[34:35], v[26:27]
	global_load_b64 v[34:35], v94, s[18:19] scale_offset
	v_mul_f64_e32 v[6:7], v[6:7], v[26:27]
	v_mul_f64_e32 v[8:9], v[54:55], v[8:9]
	s_wait_loadcnt 0x0
	v_mul_f64_e32 v[52:53], v[40:41], v[34:35]
	scratch_store_b64 off, v[46:47], off offset:344 ; 8-byte Folded Spill
	v_mul_f64_e32 v[40:41], v[44:45], v[36:37]
	s_wait_xcnt 0x0
	v_mov_b64_e32 v[44:45], v[102:103]
	v_mul_f64_e32 v[12:13], v[12:13], v[34:35]
	v_mov_b64_e32 v[46:47], v[104:105]
	s_delay_alu instid0(VALU_DEP_3)
	v_div_fixup_f64 v[98:99], v[2:3], v[44:45], 1.0
	v_mul_f64_e32 v[72:73], v[44:45], v[10:11]
	scratch_store_b64 off, v[52:53], off offset:352 ; 8-byte Folded Spill
	v_mul_f64_e32 v[24:25], v[52:53], v[24:25]
	s_wait_xcnt 0x0
	v_mul_f64_e32 v[52:53], v[44:45], v[8:9]
	v_mul_f64_e32 v[8:9], v[46:47], v[38:39]
	;; [unrolled: 1-line block ×5, first 2 shown]
	s_clause 0x1
	scratch_store_b64 off, v[8:9], off offset:432
	scratch_load_b64 v[8:9], off, off offset:472 th:TH_LOAD_LU
	v_mul_f64_e32 v[10:11], v[44:45], v[32:33]
	v_div_fixup_f64 v[44:45], v[4:5], v[64:65], 1.0
	s_delay_alu instid0(VALU_DEP_1) | instskip(SKIP_4) | instid1(VALU_DEP_1)
	v_mul_f64_e32 v[76:77], v[44:45], v[10:11]
	v_mul_f64_e32 v[50:51], v[44:45], v[52:53]
	;; [unrolled: 1-line block ×3, first 2 shown]
	s_wait_loadcnt 0x0
	v_fma_f64 v[2:3], 2.0, v[116:117], v[8:9]
	v_mul_f64_e32 v[2:3], v[2:3], v[74:75]
	s_delay_alu instid0(VALU_DEP_1) | instskip(SKIP_1) | instid1(VALU_DEP_2)
	v_mul_f64_e32 v[24:25], v[64:65], v[2:3]
	v_mul_f64_e32 v[2:3], v[2:3], v[36:37]
	;; [unrolled: 1-line block ×3, first 2 shown]
	s_delay_alu instid0(VALU_DEP_1) | instskip(SKIP_1) | instid1(VALU_DEP_2)
	v_fmac_f64_e32 v[38:39], v[64:65], v[24:25]
	v_add_f64_e32 v[24:25], v[14:15], v[16:17]
	v_add_f64_e32 v[0:1], v[0:1], v[38:39]
	s_delay_alu instid0(VALU_DEP_1) | instskip(SKIP_2) | instid1(VALU_DEP_3)
	v_fmac_f64_e32 v[0:1], 0x40080000, v[24:25]
	v_mul_f64_e32 v[24:25], v[8:9], v[74:75]
	v_mul_f64_e32 v[74:75], v[100:101], v[96:97]
	v_fmac_f64_e32 v[62:63], v[28:29], v[0:1]
	v_add_f64_e32 v[0:1], v[14:15], v[38:39]
	s_delay_alu instid0(VALU_DEP_4) | instskip(NEXT) | instid1(VALU_DEP_4)
	v_mul_f64_e32 v[4:5], v[24:25], v[36:37]
	v_mul_f64_e32 v[74:75], v[74:75], v[68:69]
	s_delay_alu instid0(VALU_DEP_3)
	v_fmac_f64_e32 v[16:17], 0xbfe80000, v[0:1]
	global_load_b64 v[0:1], v70, s[12:13] offset:16 scale_offset
	scratch_load_b64 v[8:9], off, off offset:532 th:TH_LOAD_LU ; 8-byte Folded Reload
	v_fmac_f64_e32 v[62:63], v[30:31], v[16:17]
	scratch_load_b128 v[30:33], off, off offset:516 th:TH_LOAD_LU ; 16-byte Folded Reload
	s_wait_loadcnt 0x1
	global_load_b128 v[14:17], v[8:9], off offset:-16
	scratch_load_b128 v[8:11], off, off offset:384 th:TH_LOAD_LU ; 16-byte Folded Reload
	s_wait_loadcnt 0x0
	scratch_load_b64 v[8:9], off, off offset:376 th:TH_LOAD_LU ; 8-byte Folded Reload
	v_add_f64_e64 v[28:29], v[0:1], -v[14:15]
	v_add_f64_e64 v[30:31], v[32:33], -v[16:17]
	s_delay_alu instid0(VALU_DEP_2) | instskip(NEXT) | instid1(VALU_DEP_1)
	v_mul_f64_e32 v[28:29], 0x3fb5555555555555, v[28:29]
	v_fma_f64 v[28:29], v[30:31], s[2:3], -v[28:29]
	s_delay_alu instid0(VALU_DEP_1)
	v_fmac_f64_e32 v[76:77], v[4:5], v[28:29]
	v_mov_b64_e32 v[4:5], v[10:11]
	s_wait_loadcnt 0x0
	s_clause 0x1
	global_load_b128 v[28:31], v[8:9], off offset:-16
	global_load_b64 v[10:11], v60, s[12:13] offset:16 scale_offset
	v_add_f64_e64 v[24:25], v[32:33], -v[4:5]
	s_delay_alu instid0(VALU_DEP_1)
	v_mul_f64_e32 v[24:25], 0x3fb5555555555555, v[24:25]
	s_wait_loadcnt 0x1
	v_add_f64_e64 v[38:39], v[4:5], -v[30:31]
	v_add_f64_e64 v[4:5], v[14:15], -v[28:29]
	s_wait_loadcnt 0x0
	v_add_f64_e64 v[14:15], v[10:11], -v[28:29]
	v_add_f64_e64 v[124:125], v[16:17], -v[30:31]
	v_mul_f64_e32 v[16:17], v[118:119], v[112:113]
	v_add_f64_e64 v[0:1], v[0:1], -v[10:11]
	s_delay_alu instid0(VALU_DEP_4) | instskip(NEXT) | instid1(VALU_DEP_3)
	v_mul_f64_e32 v[14:15], 0x3fb5555555555555, v[14:15]
	v_mul_f64_e32 v[16:17], v[16:17], v[26:27]
	s_delay_alu instid0(VALU_DEP_3) | instskip(NEXT) | instid1(VALU_DEP_3)
	v_mul_f64_e32 v[0:1], 0x3fb5555555555555, v[0:1]
	v_fma_f64 v[14:15], v[38:39], s[2:3], -v[14:15]
	s_delay_alu instid0(VALU_DEP_1)
	v_fmac_f64_e32 v[50:51], v[16:17], v[14:15]
	global_load_b64 v[14:15], v94, s[12:13] offset:16 scale_offset
	scratch_load_b64 v[8:9], off, off offset:424 th:TH_LOAD_LU ; 8-byte Folded Reload
	v_mul_f64_e32 v[16:17], v[80:81], v[58:59]
	scratch_load_b128 v[30:33], off, off offset:408 th:TH_LOAD_LU ; 16-byte Folded Reload
	v_mul_f64_e32 v[16:17], v[16:17], v[34:35]
	s_wait_loadcnt 0x1
	global_load_b128 v[58:61], v[8:9], off offset:-16
	s_wait_loadcnt 0x1
	s_wait_xcnt 0x0
	v_mov_b64_e32 v[8:9], v[32:33]
	s_wait_loadcnt 0x0
	v_add_f64_e64 v[28:29], v[14:15], -v[58:59]
	s_delay_alu instid0(VALU_DEP_2) | instskip(NEXT) | instid1(VALU_DEP_2)
	v_add_f64_e64 v[30:31], v[8:9], -v[60:61]
	v_mul_f64_e32 v[28:29], 0x3fb5555555555555, v[28:29]
	s_delay_alu instid0(VALU_DEP_1) | instskip(NEXT) | instid1(VALU_DEP_1)
	v_fma_f64 v[28:29], v[30:31], s[2:3], -v[28:29]
	v_fmac_f64_e32 v[52:53], v[16:17], v[28:29]
	scratch_load_b128 v[28:31], off, off offset:360 th:TH_LOAD_LU ; 16-byte Folded Reload
	s_wait_loadcnt 0x0
	v_mov_b64_e32 v[16:17], v[30:31]
	s_delay_alu instid0(VALU_DEP_1)
	v_add_f64_e64 v[28:29], v[8:9], -v[16:17]
	scratch_load_b64 v[8:9], off, off offset:336 th:TH_LOAD_LU ; 8-byte Folded Reload
	s_wait_loadcnt 0x0
	global_load_b128 v[78:81], v[8:9], off offset:-16
	scratch_load_b64 v[8:9], off, off offset:304 th:TH_LOAD_LU ; 8-byte Folded Reload
	s_wait_loadcnt 0x1
	v_add_f64_e64 v[108:109], v[60:61], -v[80:81]
	s_wait_loadcnt 0x0
	global_load_b64 v[42:43], v8, s[18:19] offset:16 scale_offset
	scratch_load_b64 v[8:9], off, off       ; 8-byte Folded Reload
	global_load_b64 v[60:61], v48, s[12:13] offset:16 scale_offset
	v_add_f64_e64 v[58:59], v[58:59], -v[78:79]
	v_add_f64_e64 v[16:17], v[16:17], -v[80:81]
	s_wait_xcnt 0x0
	v_mul_f64_e32 v[48:49], v[44:45], v[72:73]
	s_wait_loadcnt 0x2
	v_mul_f64_e32 v[42:43], v[114:115], v[42:43]
	s_wait_loadcnt 0x1
	global_load_b64 v[56:57], v8, s[18:19] offset:16 scale_offset
	s_wait_loadcnt 0x1
	v_add_f64_e64 v[10:11], v[14:15], -v[60:61]
	v_add_f64_e64 v[70:71], v[60:61], -v[78:79]
	v_mul_f64_e32 v[14:15], v[90:91], v[42:43]
	s_delay_alu instid0(VALU_DEP_3) | instskip(NEXT) | instid1(VALU_DEP_3)
	v_fma_f64 v[0:1], v[10:11], s[2:3], -v[0:1]
	v_mul_f64_e32 v[70:71], 0x3fb5555555555555, v[70:71]
	s_delay_alu instid0(VALU_DEP_1) | instskip(NEXT) | instid1(VALU_DEP_1)
	v_fma_f64 v[70:71], v[16:17], s[2:3], -v[70:71]
	v_fmac_f64_e32 v[48:49], v[74:75], v[70:71]
	s_wait_loadcnt 0x0
	v_mul_f64_e32 v[56:57], v[114:115], v[56:57]
	s_delay_alu instid0(VALU_DEP_1) | instskip(NEXT) | instid1(VALU_DEP_1)
	v_mul_f64_e32 v[22:23], v[90:91], v[56:57]
	v_mul_f64_e32 v[18:19], v[18:19], v[22:23]
	s_delay_alu instid0(VALU_DEP_1) | instskip(SKIP_1) | instid1(VALU_DEP_1)
	v_mul_f64_e32 v[18:19], v[126:127], v[18:19]
	s_wait_xcnt 0x0
	v_mul_f64_e32 v[8:9], v[44:45], v[18:19]
	s_delay_alu instid0(VALU_DEP_1)
	v_fmac_f64_e32 v[8:9], v[0:1], v[14:15]
	v_mul_f64_e32 v[0:1], 0x3fb5555555555555, v[4:5]
	s_clause 0x1
	scratch_load_b64 v[4:5], off, off offset:320 th:TH_LOAD_LU
	scratch_store_b64 off, v[8:9], off offset:304
	v_fma_f64 v[0:1], v[58:59], s[2:3], -v[0:1]
	s_wait_loadcnt 0x0
	v_mul_f64_e32 v[8:9], v[44:45], v[4:5]
	scratch_load_b64 v[4:5], off, off offset:168 th:TH_LOAD_LU ; 8-byte Folded Reload
	s_wait_loadcnt 0x0
	v_fmac_f64_e32 v[8:9], v[0:1], v[4:5]
	s_clause 0x5
	scratch_store_b64 off, v[8:9], off offset:168
	scratch_load_b32 v19, off, off offset:148 th:TH_LOAD_LU
	scratch_load_b32 v0, off, off offset:488 th:TH_LOAD_LU
	;; [unrolled: 1-line block ×5, first 2 shown]
	s_wait_loadcnt 0x3
	s_wait_xcnt 0x5
	v_add3_u32 v8, v19, v0, s20
	s_wait_loadcnt 0x2
	v_add3_u32 v9, v18, v0, s20
	s_wait_loadcnt 0x1
	;; [unrolled: 2-line block ×3, first 2 shown]
	v_add3_u32 v15, v30, v0, s20
	v_add3_u32 v74, v18, v88, s20
	;; [unrolled: 1-line block ×4, first 2 shown]
	v_dual_add_nc_u32 v16, s20, v8 :: v_dual_add_nc_u32 v17, s20, v9
	v_dual_add_nc_u32 v87, s20, v14 :: v_dual_add_nc_u32 v94, s20, v15
	s_delay_alu instid0(VALU_DEP_4) | instskip(NEXT) | instid1(VALU_DEP_4)
	v_dual_add_nc_u32 v118, s20, v74 :: v_dual_add_nc_u32 v119, s20, v75
	v_add_nc_u32_e32 v127, s20, v80
	s_clause 0x7
	global_load_b64 v[56:57], v16, s[12:13] scale_offset
	global_load_b64 v[22:23], v17, s[12:13] scale_offset
	;; [unrolled: 1-line block ×8, first 2 shown]
	s_wait_xcnt 0x3
	v_add3_u32 v8, v19, v88, s20
	s_wait_loadcnt 0x6
	s_delay_alu instid0(VALU_DEP_1) | instskip(SKIP_2) | instid1(VALU_DEP_2)
	v_dual_add_f64 v[0:1], v[56:57], -v[22:23] :: v_dual_add_nc_u32 v95, s20, v8
	s_wait_loadcnt 0x4
	v_add_f64_e64 v[10:11], v[4:5], -v[42:43]
	v_mul_f64_e32 v[0:1], 0x3fb5555555555555, v[0:1]
	s_delay_alu instid0(VALU_DEP_1) | instskip(SKIP_2) | instid1(VALU_DEP_2)
	v_fma_f64 v[0:1], v[10:11], s[2:3], -v[0:1]
	s_wait_loadcnt 0x0
	v_add_f64_e64 v[10:11], v[72:73], -v[82:83]
	v_mul_f64_e32 v[0:1], v[2:3], v[0:1]
	v_add_f64_e64 v[2:3], v[58:59], -v[70:71]
	s_delay_alu instid0(VALU_DEP_2) | instskip(NEXT) | instid1(VALU_DEP_2)
	v_mul_f64_e32 v[0:1], v[64:65], v[0:1]
	v_mul_f64_e32 v[2:3], 0x3fb5555555555555, v[2:3]
	s_delay_alu instid0(VALU_DEP_2) | instskip(NEXT) | instid1(VALU_DEP_2)
	v_mul_f64_e32 v[0:1], v[98:99], v[0:1]
	v_fma_f64 v[2:3], v[10:11], s[2:3], -v[2:3]
	s_delay_alu instid0(VALU_DEP_1)
	v_fmac_f64_e32 v[0:1], v[40:41], v[2:3]
	scratch_store_b64 off, v[0:1], off offset:320 ; 8-byte Folded Spill
	s_clause 0x7
	global_load_b64 v[60:61], v95, s[12:13] scale_offset
	global_load_b64 v[2:3], v118, s[12:13] scale_offset
	;; [unrolled: 1-line block ×8, first 2 shown]
	s_wait_loadcnt 0x7
	v_add_f64_e64 v[56:57], v[56:57], -v[60:61]
	s_wait_loadcnt 0x5
	v_add_f64_e64 v[4:5], v[4:5], -v[40:41]
	v_add_f64_e64 v[0:1], v[60:61], -v[2:3]
	s_wait_loadcnt 0x4
	v_add_f64_e64 v[14:15], v[40:41], -v[84:85]
	s_wait_loadcnt 0x0
	v_add_f64_e64 v[80:81], v[74:75], -v[90:91]
	v_add_f64_e64 v[2:3], v[22:23], -v[2:3]
	v_add_f64_e64 v[90:91], v[82:83], -v[90:91]
	v_mul_f64_e32 v[56:57], 0x3fb5555555555555, v[56:57]
	v_mul_f64_e32 v[4:5], 0x3fb5555555555555, v[4:5]
	;; [unrolled: 1-line block ×4, first 2 shown]
	s_delay_alu instid0(VALU_DEP_2) | instskip(SKIP_1) | instid1(VALU_DEP_2)
	v_fma_f64 v[0:1], v[14:15], s[2:3], -v[0:1]
	v_add_f64_e64 v[14:15], v[46:47], -v[78:79]
	v_mul_f64_e32 v[0:1], v[6:7], v[0:1]
	s_delay_alu instid0(VALU_DEP_2) | instskip(NEXT) | instid1(VALU_DEP_2)
	v_mul_f64_e32 v[14:15], 0x3fb5555555555555, v[14:15]
	v_mul_f64_e32 v[0:1], v[64:65], v[0:1]
	s_delay_alu instid0(VALU_DEP_2) | instskip(NEXT) | instid1(VALU_DEP_2)
	v_fma_f64 v[80:81], v[80:81], s[2:3], -v[14:15]
	v_mul_f64_e32 v[0:1], v[98:99], v[0:1]
	s_delay_alu instid0(VALU_DEP_1)
	v_fmac_f64_e32 v[0:1], v[54:55], v[80:81]
	s_clause 0x1
	scratch_store_b64 off, v[0:1], off offset:336
	scratch_load_b32 v0, off, off offset:244 th:TH_LOAD_LU
	s_wait_loadcnt 0x0
	v_add3_u32 v6, v19, v0, s20
	v_add3_u32 v7, v18, v0, s20
	;; [unrolled: 1-line block ×4, first 2 shown]
	s_delay_alu instid0(VALU_DEP_3) | instskip(NEXT) | instid1(VALU_DEP_2)
	v_dual_add_nc_u32 v88, s20, v6 :: v_dual_add_nc_u32 v14, s20, v7
	v_dual_add_nc_u32 v11, s20, v10 :: v_dual_add_nc_u32 v8, s20, v9
	s_clause 0x3
	global_load_b64 v[80:81], v88, s[12:13] scale_offset
	global_load_b64 v[54:55], v14, s[12:13] scale_offset
	global_load_b64 v[92:93], v11, s[12:13] scale_offset
	global_load_b64 v[96:97], v8, s[12:13] scale_offset
	s_wait_loadcnt 0x2
	v_add_f64_e64 v[0:1], v[80:81], -v[54:55]
	s_wait_loadcnt 0x0
	v_add_f64_e64 v[100:101], v[92:93], -v[96:97]
	s_delay_alu instid0(VALU_DEP_2) | instskip(NEXT) | instid1(VALU_DEP_1)
	v_mul_f64_e32 v[0:1], 0x3fb5555555555555, v[0:1]
	v_fma_f64 v[0:1], v[100:101], s[2:3], -v[0:1]
	s_delay_alu instid0(VALU_DEP_1)
	v_mul_f64_e32 v[0:1], v[12:13], v[0:1]
	scratch_load_b32 v13, off, off offset:176 th:TH_LOAD_LU ; 4-byte Folded Reload
	v_mul_f64_e32 v[0:1], v[64:65], v[0:1]
	s_wait_loadcnt 0x0
	v_add3_u32 v15, v19, v13, s20
	v_add3_u32 v12, v18, v13, s20
	;; [unrolled: 1-line block ×4, first 2 shown]
	s_delay_alu instid0(VALU_DEP_3) | instskip(NEXT) | instid1(VALU_DEP_2)
	v_dual_add_nc_u32 v32, s20, v15 :: v_dual_add_nc_u32 v30, s20, v12
	v_dual_add_nc_u32 v13, s20, v18 :: v_dual_add_nc_u32 v31, s20, v19
	s_clause 0x3
	global_load_b64 v[38:39], v32, s[12:13] scale_offset
	global_load_b64 v[100:101], v30, s[12:13] scale_offset
	;; [unrolled: 1-line block ×4, first 2 shown]
	scratch_load_b32 v33, off, off offset:140 th:TH_LOAD_LU ; 4-byte Folded Reload
	s_wait_loadcnt 0x3
	v_add_f64_e64 v[102:103], v[38:39], -v[100:101]
	s_wait_loadcnt 0x2
	v_add_f64_e64 v[92:93], v[92:93], -v[104:105]
	s_wait_loadcnt 0x0
	v_dual_add_f64 v[112:113], v[104:105], -v[110:111] :: v_dual_add_nc_u32 v33, s23, v33
	s_delay_alu instid0(VALU_DEP_3) | instskip(NEXT) | instid1(VALU_DEP_3)
	v_mul_f64_e32 v[102:103], 0x3fb5555555555555, v[102:103]
	v_fma_f64 v[4:5], v[92:93], s[2:3], -v[4:5]
	s_delay_alu instid0(VALU_DEP_2) | instskip(NEXT) | instid1(VALU_DEP_1)
	v_fma_f64 v[102:103], v[112:113], s[2:3], -v[102:103]
	v_mul_f64_e32 v[20:21], v[20:21], v[102:103]
	global_load_b64 v[40:41], v33, s[18:19] scale_offset
	s_clause 0x2
	scratch_load_b64 v[102:103], off, off offset:276 th:TH_LOAD_LU
	scratch_load_b64 v[92:93], off, off offset:16
	scratch_store_b64 off, v[0:1], off offset:148
	s_wait_xcnt 0x0
	v_mul_f64_e32 v[0:1], v[64:65], v[20:21]
	scratch_store_b64 off, v[0:1], off offset:176 ; 8-byte Folded Spill
	s_wait_loadcnt 0x1
	v_mul_f64_e32 v[40:41], v[102:103], v[40:41]
	s_wait_loadcnt 0x0
	s_delay_alu instid0(VALU_DEP_1) | instskip(NEXT) | instid1(VALU_DEP_1)
	v_mul_f64_e32 v[40:41], v[92:93], v[40:41]
	v_mul_f64_e32 v[40:41], v[4:5], v[40:41]
	s_wait_xcnt 0x0
	s_delay_alu instid0(VALU_DEP_1)
	v_mul_f64_e32 v[0:1], v[66:67], v[40:41]
	v_add_f64_e64 v[40:41], v[54:55], -v[100:101]
	s_clause 0x1
	scratch_store_b64 off, v[0:1], off offset:132
	scratch_load_b32 v0, off, off offset:292 th:TH_LOAD_LU
	v_fma_f64 v[2:3], v[40:41], s[2:3], -v[2:3]
	s_wait_loadcnt 0x0
	v_add_nc_u32_e32 v20, s23, v0
	global_load_b64 v[22:23], v20, s[18:19] scale_offset
	s_clause 0x1
	scratch_load_b64 v[0:1], off, off offset:248 th:TH_LOAD_LU
	scratch_load_b64 v[114:115], off, off offset:236 th:TH_LOAD_LU
	s_wait_loadcnt 0x1
	v_mul_f64_e32 v[22:23], v[0:1], v[22:23]
	scratch_load_b32 v0, off, off offset:272 th:TH_LOAD_LU ; 4-byte Folded Reload
	s_wait_loadcnt 0x1
	v_mul_f64_e32 v[22:23], v[114:115], v[22:23]
	s_delay_alu instid0(VALU_DEP_1) | instskip(SKIP_2) | instid1(VALU_DEP_2)
	v_mul_f64_e32 v[2:3], v[2:3], v[22:23]
	v_add_f64_e64 v[22:23], v[42:43], -v[84:85]
	v_add_f64_e64 v[42:43], v[96:97], -v[110:111]
	v_mul_f64_e32 v[22:23], 0x3fb5555555555555, v[22:23]
	s_delay_alu instid0(VALU_DEP_1)
	v_fma_f64 v[22:23], v[42:43], s[2:3], -v[22:23]
	v_mul_f64_e32 v[42:43], v[98:99], v[44:45]
	s_wait_loadcnt 0x0
	v_add_nc_u32_e32 v21, s23, v0
	global_load_b64 v[40:41], v21, s[18:19] scale_offset
	s_clause 0x1
	scratch_load_b64 v[0:1], off, off offset:228 th:TH_LOAD_LU
	scratch_load_b128 v[64:67], off, off offset:256 th:TH_LOAD_LU
	s_wait_loadcnt 0x1
	v_mul_f64_e32 v[40:41], v[0:1], v[40:41]
	scratch_load_b64 v[0:1], off, off offset:8 ; 8-byte Folded Reload
	s_wait_loadcnt 0x0
	v_mul_f64_e32 v[40:41], v[0:1], v[40:41]
	v_mul_f64_e32 v[0:1], v[64:65], v[2:3]
	v_dual_add_nc_u32 v2, s20, v87 :: v_dual_add_nc_u32 v3, s20, v94
	s_delay_alu instid0(VALU_DEP_3)
	v_mul_f64_e32 v[40:41], v[22:23], v[40:41]
	scratch_store_b64 off, v[0:1], off offset:208 ; 8-byte Folded Spill
	s_wait_xcnt 0x0
	v_mul_f64_e32 v[0:1], v[66:67], v[40:41]
	s_clause 0x1
	scratch_store_b64 off, v[0:1], off offset:140
	scratch_load_b64 v[0:1], off, off offset:328 th:TH_LOAD_LU
	s_wait_loadcnt 0x0
	v_mul_f64_e32 v[40:41], 0x3fc5555555555555, v[0:1]
	scratch_load_b64 v[0:1], off, off offset:480 th:TH_LOAD_LU ; 8-byte Folded Reload
	v_fma_f64 v[54:55], v[44:45], v[40:41], 0
	s_wait_loadcnt 0x0
	v_mul_f64_e32 v[40:41], 0x3fc5555555555555, v[0:1]
	scratch_load_b64 v[0:1], off, off offset:312 th:TH_LOAD_LU ; 8-byte Folded Reload
	v_fmac_f64_e32 v[54:55], v[98:99], v[40:41]
	v_mul_f64_e32 v[40:41], 0x3fc5555555555555, v[62:63]
	s_wait_loadcnt 0x0
	s_delay_alu instid0(VALU_DEP_2)
	v_fmac_f64_e32 v[54:55], 0x3fc5555555555555, v[0:1]
	scratch_load_b64 v[0:1], off, off offset:100 th:TH_LOAD_LU ; 8-byte Folded Reload
	v_fmac_f64_e32 v[54:55], v[42:43], v[40:41]
	v_mul_f64_e32 v[40:41], v[116:117], v[106:107]
	v_add_f64_e64 v[116:117], v[52:53], -v[48:49]
	s_wait_loadcnt 0x0
	v_mul_f64_e32 v[42:43], 0x3fb5555555555555, v[0:1]
	scratch_load_b64 v[0:1], off, off offset:108 th:TH_LOAD_LU ; 8-byte Folded Reload
	s_wait_loadcnt 0x0
	v_fma_f64 v[64:65], v[0:1], s[2:3], -v[42:43]
	v_fma_f64 v[0:1], v[28:29], s[2:3], -v[24:25]
	v_mul_f64_e32 v[28:29], v[40:41], v[36:37]
	v_add_f64_e64 v[24:25], v[76:77], -v[50:51]
	s_clause 0x1
	scratch_store_b64 off, v[0:1], off offset:100
	scratch_load_b64 v[0:1], off, off offset:24 th:TH_LOAD_LU
	v_mul_f64_e32 v[48:49], 0x3fb5555555555555, v[24:25]
	s_wait_loadcnt 0x0
	v_mul_f64_e32 v[36:37], v[120:121], v[0:1]
	v_dual_add_nc_u32 v0, s20, v16 :: v_dual_add_nc_u32 v1, s20, v17
	s_clause 0x1
	global_load_b64 v[66:67], v0, s[12:13] scale_offset
	global_load_b64 v[84:85], v1, s[12:13] scale_offset
	s_wait_xcnt 0x0
	v_dual_add_nc_u32 v0, s20, v95 :: v_dual_add_nc_u32 v1, s20, v118
	s_clause 0x1
	global_load_b64 v[100:101], v2, s[12:13] scale_offset
	global_load_b64 v[96:97], v3, s[12:13] scale_offset
	s_wait_xcnt 0x1
	v_add_nc_u32_e32 v2, s20, v119
	s_wait_xcnt 0x0
	v_add_nc_u32_e32 v3, s20, v127
	s_clause 0x3
	global_load_b64 v[102:103], v0, s[12:13] scale_offset
	global_load_b64 v[104:105], v1, s[12:13] scale_offset
	;; [unrolled: 1-line block ×4, first 2 shown]
	scratch_load_b64 v[0:1], off, off offset:296 th:TH_LOAD_LU ; 8-byte Folded Reload
	s_wait_xcnt 0x1
	v_dual_add_nc_u32 v2, s20, v11 :: v_dual_add_nc_u32 v3, s20, v8
	v_add_nc_u32_e32 v8, s20, v31
	v_mul_f64_e32 v[36:37], v[36:37], v[26:27]
	s_wait_loadcnt 0x7
	v_add_f64_e64 v[40:41], v[66:67], -v[84:85]
	s_wait_loadcnt 0x5
	v_add_f64_e64 v[42:43], v[100:101], -v[96:97]
	;; [unrolled: 2-line block ×5, first 2 shown]
	v_mul_f64_e32 v[40:41], 0x3fb5555555555555, v[40:41]
	s_delay_alu instid0(VALU_DEP_3) | instskip(NEXT) | instid1(VALU_DEP_2)
	v_mul_f64_e32 v[26:27], 0x3fb5555555555555, v[26:27]
	v_fma_f64 v[40:41], v[42:43], s[2:3], -v[40:41]
	v_add_f64_e64 v[42:43], v[106:107], -v[22:23]
	v_mul_f64_e32 v[22:23], 0x3fb5555555555555, v[90:91]
	s_delay_alu instid0(VALU_DEP_3) | instskip(NEXT) | instid1(VALU_DEP_3)
	v_mul_f64_e32 v[28:29], v[28:29], v[40:41]
	v_fma_f64 v[42:43], v[42:43], s[2:3], -v[26:27]
	s_wait_loadcnt 0x0
	v_mul_f64_e32 v[26:27], 0x3fc5555555555555, v[0:1]
	s_delay_alu instid0(VALU_DEP_1) | instskip(SKIP_1) | instid1(VALU_DEP_1)
	v_fmac_f64_e32 v[54:55], v[98:99], v[26:27]
	v_mul_f64_e32 v[26:27], 0x3fb5555555555555, v[124:125]
	v_fma_f64 v[0:1], v[108:109], s[2:3], -v[26:27]
	scratch_store_b64 off, v[0:1], off offset:24 ; 8-byte Folded Spill
	s_wait_xcnt 0x0
	v_mul_f64_e32 v[0:1], v[36:37], v[42:43]
	s_clause 0x1
	scratch_store_b64 off, v[0:1], off offset:108
	scratch_load_b64 v[0:1], off, off offset:724 th:TH_LOAD_LU
	s_clause 0x3
	global_load_b64 v[108:109], v6, s[12:13] scale_offset
	global_load_b64 v[110:111], v7, s[12:13] scale_offset
	;; [unrolled: 1-line block ×4, first 2 shown]
	s_wait_xcnt 0x0
	v_add_nc_u32_e32 v9, s20, v13
	s_wait_loadcnt 0x4
	v_mul_f64_e32 v[36:37], v[122:123], v[0:1]
	v_dual_add_nc_u32 v0, s20, v88 :: v_dual_add_nc_u32 v1, s20, v14
	s_wait_loadcnt 0x2
	v_add_f64_e64 v[40:41], v[108:109], -v[110:111]
	s_wait_loadcnt 0x0
	v_add_f64_e64 v[42:43], v[112:113], -v[118:119]
	s_clause 0x3
	global_load_b64 v[120:121], v0, s[12:13] scale_offset
	global_load_b64 v[124:125], v1, s[12:13] scale_offset
	global_load_b64 v[126:127], v2, s[12:13] scale_offset
	global_load_b64 v[92:93], v3, s[12:13] scale_offset
	scratch_load_b64 v[0:1], off, off offset:284 th:TH_LOAD_LU ; 8-byte Folded Reload
	v_mul_f64_e32 v[40:41], 0x3fb5555555555555, v[40:41]
	s_delay_alu instid0(VALU_DEP_1)
	v_fma_f64 v[40:41], v[42:43], s[2:3], -v[40:41]
	v_mul_f64_e32 v[42:43], v[36:37], v[34:35]
	s_wait_loadcnt 0x3
	v_add_f64_e64 v[34:35], v[120:121], -v[124:125]
	s_wait_loadcnt 0x1
	v_add_f64_e64 v[36:37], v[126:127], -v[92:93]
	s_delay_alu instid0(VALU_DEP_2) | instskip(NEXT) | instid1(VALU_DEP_1)
	v_mul_f64_e32 v[34:35], 0x3fb5555555555555, v[34:35]
	v_fma_f64 v[26:27], v[36:37], s[2:3], -v[34:35]
	s_wait_loadcnt 0x0
	v_mul_f64_e32 v[34:35], 0x3fb5555555555555, v[0:1]
	scratch_load_b64 v[0:1], off, off offset:220 th:TH_LOAD_LU ; 8-byte Folded Reload
	v_mul_f64_e32 v[24:25], v[42:43], v[26:27]
	s_wait_loadcnt 0x0
	v_fma_f64 v[36:37], v[0:1], s[2:3], -v[34:35]
	scratch_load_b64 v[0:1], off, off offset:432 th:TH_LOAD_LU ; 8-byte Folded Reload
	s_wait_loadcnt 0x0
	v_mul_f64_e32 v[10:11], v[44:45], v[0:1]
	scratch_load_b64 v[0:1], off, off offset:160 th:TH_LOAD_LU ; 8-byte Folded Reload
	s_wait_loadcnt 0x0
	v_mul_f64_e32 v[34:35], v[44:45], v[0:1]
	s_clause 0x1
	scratch_load_b64 v[0:1], off, off offset:716 th:TH_LOAD_LU
	scratch_load_b64 v[2:3], off, off offset:32 th:TH_LOAD_LU
	v_add_f64_e32 v[44:45], v[54:55], v[64:65]
	s_delay_alu instid0(VALU_DEP_1)
	v_add_f64_e32 v[36:37], v[36:37], v[44:45]
	s_wait_loadcnt 0x0
	v_mul_f64_e32 v[16:17], v[2:3], v[0:1]
	s_clause 0x3
	global_load_b64 v[64:65], v15, s[12:13] scale_offset
	global_load_b64 v[0:1], v12, s[12:13] scale_offset
	;; [unrolled: 1-line block ×4, first 2 shown]
	v_dual_add_nc_u32 v2, s20, v32 :: v_dual_add_nc_u32 v3, s20, v30
	s_wait_loadcnt 0x2
	v_add_f64_e64 v[50:51], v[64:65], -v[0:1]
	s_wait_loadcnt 0x0
	v_add_f64_e64 v[52:53], v[4:5], -v[6:7]
	v_add_f64_e64 v[0:1], v[110:111], -v[0:1]
	s_delay_alu instid0(VALU_DEP_3) | instskip(NEXT) | instid1(VALU_DEP_1)
	v_mul_f64_e32 v[50:51], 0x3fb5555555555555, v[50:51]
	v_fma_f64 v[50:51], v[52:53], s[2:3], -v[50:51]
	v_mul_f64_e32 v[52:53], v[16:17], v[68:69]
	s_clause 0x3
	global_load_b64 v[16:17], v2, s[12:13] scale_offset
	global_load_b64 v[68:69], v3, s[12:13] scale_offset
	;; [unrolled: 1-line block ×4, first 2 shown]
	scratch_load_b32 v12, off, off offset:72 th:TH_LOAD_LU ; 4-byte Folded Reload
	s_wait_xcnt 0x1
	v_add_f64_e64 v[8:9], v[58:59], -v[46:47]
	v_add_f64_e64 v[58:59], v[108:109], -v[64:65]
	s_delay_alu instid0(VALU_DEP_2)
	v_mul_f64_e32 v[8:9], 0x3fb5555555555555, v[8:9]
	s_wait_loadcnt 0x3
	v_add_f64_e64 v[54:55], v[16:17], -v[68:69]
	s_wait_loadcnt 0x0
	v_dual_add_f64 v[76:77], v[2:3], -v[94:95] :: v_dual_add_nc_u32 v14, s23, v12
	v_add_f64_e64 v[92:93], v[92:93], -v[94:95]
	global_load_b64 v[60:61], v14, s[18:19] scale_offset
	s_clause 0x1
	scratch_load_b64 v[12:13], off, off offset:200 th:TH_LOAD_LU
	scratch_load_b64 v[30:31], off, off offset:192 th:TH_LOAD_LU
	s_wait_xcnt 0x2
	v_add_nc_u32_e32 v14, s20, v14
	v_mul_f64_e32 v[54:55], 0x3fb5555555555555, v[54:55]
	s_delay_alu instid0(VALU_DEP_1) | instskip(NEXT) | instid1(VALU_DEP_1)
	v_fma_f64 v[54:55], v[76:77], s[2:3], -v[54:55]
	v_mul_f64_e32 v[26:27], v[52:53], v[54:55]
	s_wait_loadcnt 0x1
	v_mul_f64_e32 v[60:61], v[12:13], v[60:61]
	v_add_f64_e64 v[12:13], v[80:81], -v[38:39]
	v_add_f64_e64 v[80:81], v[126:127], -v[2:3]
	v_fma_f64 v[38:39], v[116:117], s[2:3], -v[48:49]
	s_delay_alu instid0(VALU_DEP_3) | instskip(SKIP_2) | instid1(VALU_DEP_1)
	v_fma_f64 v[12:13], v[12:13], s[2:3], -v[56:57]
	s_wait_loadcnt 0x0
	v_mul_f64_e32 v[56:57], v[30:31], v[60:61]
	v_mul_f64_e32 v[12:13], v[12:13], v[56:57]
	global_load_b64 v[56:57], v86, s[18:19] scale_offset
	scratch_load_b64 v[18:19], off, off offset:184 th:TH_LOAD_LU ; 8-byte Folded Reload
	s_wait_loadcnt 0x0
	v_mul_f64_e32 v[60:61], v[18:19], v[56:57]
	global_load_b64 v[56:57], v14, s[18:19] scale_offset
	s_wait_xcnt 0x0
	v_add_nc_u32_e32 v14, s20, v20
	s_wait_loadcnt 0x0
	v_mul_f64_e32 v[64:65], v[18:19], v[56:57]
	v_fma_f64 v[56:57], v[58:59], s[2:3], -v[8:9]
	scratch_load_b64 v[8:9], off, off offset:708 th:TH_LOAD_LU ; 8-byte Folded Reload
	s_wait_loadcnt 0x0
	v_mul_f64_e32 v[76:77], v[8:9], v[12:13]
	v_mov_b64_e32 v[8:9], v[30:31]
	v_mul_f64_e32 v[12:13], 0x3fb5555555555555, v[66:67]
	s_delay_alu instid0(VALU_DEP_2) | instskip(SKIP_2) | instid1(VALU_DEP_1)
	v_mul_f64_e32 v[58:59], v[8:9], v[60:61]
	v_mul_f64_e32 v[60:61], v[8:9], v[64:65]
	v_add_f64_e64 v[8:9], v[120:121], -v[16:17]
	v_fma_f64 v[16:17], v[8:9], s[2:3], -v[12:13]
	scratch_load_b32 v12, off, off offset:156 th:TH_LOAD_LU ; 4-byte Folded Reload
	v_add_f64_e64 v[8:9], v[70:71], -v[78:79]
	v_add_f64_e64 v[78:79], v[84:85], -v[104:105]
	;; [unrolled: 1-line block ×3, first 2 shown]
	v_dual_add_f64 v[84:85], v[72:73], -v[74:75] :: v_dual_add_nc_u32 v4, s20, v33
	v_mul_f64_e32 v[72:73], 0x3fb5555555555555, v[96:97]
	s_wait_loadcnt 0x0
	global_load_b64 v[12:13], v12, s[18:19] scale_offset
	scratch_load_b64 v[18:19], off, off offset:124 th:TH_LOAD_LU ; 8-byte Folded Reload
	global_load_b64 v[62:63], v14, s[18:19] scale_offset
	v_mul_f64_e32 v[8:9], 0x3fb5555555555555, v[8:9]
	v_mul_f64_e32 v[16:17], v[16:17], v[60:61]
	v_fma_f64 v[52:53], v[92:93], s[2:3], -v[72:73]
	s_wait_loadcnt 0x1
	s_wait_xcnt 0x2
	v_mul_f64_e32 v[12:13], v[18:19], v[12:13]
	s_wait_loadcnt 0x0
	v_mul_f64_e32 v[66:67], v[18:19], v[62:63]
	v_fma_f64 v[62:63], v[0:1], s[2:3], -v[8:9]
	v_add_f64_e64 v[0:1], v[124:125], -v[68:69]
	v_mul_f64_e32 v[8:9], 0x3fb5555555555555, v[78:79]
	v_mul_f64_e32 v[64:65], v[114:115], v[12:13]
	v_dual_mul_f64 v[66:67], v[114:115], v[66:67] :: v_dual_add_nc_u32 v12, s20, v21
	s_delay_alu instid0(VALU_DEP_3)
	v_fma_f64 v[68:69], v[0:1], s[2:3], -v[8:9]
	global_load_b64 v[0:1], v89, s[18:19] scale_offset
	s_clause 0x1
	scratch_load_b64 v[8:9], off, off offset:116 th:TH_LOAD_LU
	scratch_load_b32 v2, off, off offset:64 th:TH_LOAD_LU
	s_wait_xcnt 0x2
	v_add_f64_e64 v[88:89], v[100:101], -v[106:107]
	s_delay_alu instid0(VALU_DEP_1) | instskip(NEXT) | instid1(VALU_DEP_1)
	v_mul_f64_e32 v[20:21], 0x3fb5555555555555, v[88:89]
	v_fma_f64 v[20:21], v[80:81], s[2:3], -v[20:21]
	s_wait_loadcnt 0x1
	v_mul_f64_e32 v[78:79], v[8:9], v[0:1]
	global_load_b64 v[0:1], v4, s[18:19] scale_offset
	s_wait_loadcnt 0x1
	global_load_b64 v[2:3], v2, s[18:19] scale_offset
	s_clause 0x1
	scratch_load_b64 v[4:5], off, off offset:56 th:TH_LOAD_LU
	scratch_load_b64 v[32:33], off, off th:TH_LOAD_LU
	s_wait_loadcnt 0x3
	v_mul_f64_e32 v[74:75], v[8:9], v[0:1]
	s_wait_loadcnt 0x1
	v_mul_f64_e32 v[102:103], v[4:5], v[2:3]
	global_load_b64 v[2:3], v12, s[18:19] scale_offset
	v_add_f64_e64 v[0:1], v[118:119], -v[6:7]
	v_mul_f64_e32 v[6:7], v[98:99], v[76:77]
	s_wait_xcnt 0x0
	v_mul_f64_e32 v[12:13], 0x3fb5555555555555, v[84:85]
	s_delay_alu instid0(VALU_DEP_3) | instskip(NEXT) | instid1(VALU_DEP_3)
	v_fma_f64 v[0:1], v[0:1], s[2:3], -v[22:23]
	v_fmac_f64_e32 v[6:7], v[56:57], v[58:59]
	s_delay_alu instid0(VALU_DEP_3) | instskip(NEXT) | instid1(VALU_DEP_2)
	v_fma_f64 v[12:13], v[70:71], s[2:3], -v[12:13]
	v_fmac_f64_e32 v[6:7], v[98:99], v[16:17]
	s_wait_loadcnt 0x0
	v_mul_f64_e32 v[100:101], v[4:5], v[2:3]
	global_load_b64 v[94:95], v32, s[6:7] scale_offset
	s_clause 0x4
	scratch_load_b64 v[2:3], off, off offset:148 th:TH_LOAD_LU
	scratch_load_b64 v[4:5], off, off offset:176 th:TH_LOAD_LU
	;; [unrolled: 1-line block ×5, first 2 shown]
	s_wait_loadcnt 0x4
	v_mul_f64_e32 v[2:3], v[98:99], v[2:3]
	s_wait_loadcnt 0x3
	v_mul_f64_e32 v[4:5], v[98:99], v[4:5]
	s_wait_loadcnt 0x2
	v_mul_f64_e32 v[8:9], v[98:99], v[8:9]
	s_wait_loadcnt 0x0
	v_add_f64_e64 v[76:77], v[14:15], -v[18:19]
	s_clause 0x1
	scratch_load_b64 v[14:15], off, off offset:48 th:TH_LOAD_LU
	scratch_load_b64 v[18:19], off, off offset:100 th:TH_LOAD_LU
	v_fmac_f64_e32 v[8:9], v[62:63], v[64:65]
	v_mul_f64_e32 v[44:45], 0x3fb5555555555555, v[76:77]
	s_wait_loadcnt 0x0
	v_fmac_f64_e32 v[10:11], v[18:19], v[14:15]
	s_clause 0x2
	scratch_load_b64 v[14:15], off, off offset:40 th:TH_LOAD_LU
	scratch_load_b64 v[18:19], off, off offset:24 th:TH_LOAD_LU
	;; [unrolled: 1-line block ×3, first 2 shown]
	s_wait_loadcnt 0x1
	v_fmac_f64_e32 v[34:35], v[18:19], v[14:15]
	s_clause 0x1
	scratch_load_b64 v[84:85], off, off offset:336 th:TH_LOAD_LU
	scratch_load_b64 v[14:15], off, off offset:108 th:TH_LOAD_LU
	s_wait_loadcnt 0x2
	v_fmac_f64_e32 v[82:83], v[98:99], v[28:29]
	v_mul_f64_e32 v[28:29], v[68:69], v[66:67]
	scratch_load_b64 v[18:19], off, off offset:132 th:TH_LOAD_LU ; 8-byte Folded Reload
	v_fmac_f64_e32 v[8:9], v[98:99], v[28:29]
	s_wait_loadcnt 0x1
	v_fmac_f64_e32 v[84:85], v[98:99], v[14:15]
	scratch_load_b64 v[14:15], off, off offset:352 th:TH_LOAD_LU ; 8-byte Folded Reload
	s_wait_loadcnt 0x0
	v_fmac_f64_e32 v[2:3], v[14:15], v[40:41]
	scratch_load_b64 v[14:15], off, off offset:344 th:TH_LOAD_LU ; 8-byte Folded Reload
	v_fmac_f64_e32 v[2:3], v[98:99], v[24:25]
	s_wait_loadcnt 0x0
	v_fmac_f64_e32 v[4:5], v[14:15], v[50:51]
	scratch_load_b64 v[14:15], off, off offset:16 th:TH_LOAD_LU ; 8-byte Folded Reload
	v_fmac_f64_e32 v[4:5], v[98:99], v[26:27]
	s_delay_alu instid0(VALU_DEP_1) | instskip(SKIP_1) | instid1(VALU_DEP_1)
	v_add_f64_e64 v[2:3], v[2:3], -v[4:5]
	v_add_f64_e64 v[4:5], v[6:7], -v[8:9]
	v_mul_f64_e32 v[4:5], 0x3fb5555555555555, v[4:5]
	s_wait_loadcnt 0x0
	v_mul_f64_e32 v[30:31], v[14:15], v[78:79]
	v_mul_f64_e32 v[42:43], v[14:15], v[74:75]
	scratch_load_b64 v[14:15], off, off offset:8 th:TH_LOAD_LU ; 8-byte Folded Reload
	v_mul_f64_e32 v[40:41], v[98:99], v[18:19]
	scratch_load_b64 v[18:19], off, off offset:140 th:TH_LOAD_LU ; 8-byte Folded Reload
	v_fmac_f64_e32 v[40:41], v[12:13], v[30:31]
	v_mul_f64_e32 v[12:13], v[20:21], v[42:43]
	s_delay_alu instid0(VALU_DEP_1)
	v_fmac_f64_e32 v[40:41], v[98:99], v[12:13]
	s_wait_loadcnt 0x1
	v_mul_f64_e32 v[46:47], v[14:15], v[102:103]
	v_mul_f64_e32 v[50:51], v[14:15], v[100:101]
	s_wait_loadcnt 0x0
	v_mul_f64_e32 v[22:23], v[98:99], v[18:19]
	v_add_f64_e64 v[18:19], v[10:11], -v[34:35]
	v_add_f64_e64 v[10:11], v[82:83], -v[84:85]
	v_add_f64_e32 v[14:15], v[36:37], v[38:39]
	s_delay_alu instid0(VALU_DEP_4) | instskip(SKIP_3) | instid1(VALU_DEP_3)
	v_fmac_f64_e32 v[22:23], v[0:1], v[46:47]
	v_mul_f64_e32 v[0:1], v[52:53], v[50:51]
	v_fma_f64 v[16:17], v[18:19], s[2:3], -v[44:45]
	v_mul_f64_e32 v[10:11], 0x3fb5555555555555, v[10:11]
	v_fmac_f64_e32 v[22:23], v[98:99], v[0:1]
	s_delay_alu instid0(VALU_DEP_3) | instskip(NEXT) | instid1(VALU_DEP_3)
	v_add_f64_e32 v[0:1], v[14:15], v[16:17]
	v_fma_f64 v[2:3], v[2:3], s[2:3], -v[10:11]
	s_delay_alu instid0(VALU_DEP_3) | instskip(NEXT) | instid1(VALU_DEP_2)
	v_add_f64_e64 v[6:7], v[40:41], -v[22:23]
	v_add_f64_e32 v[0:1], v[0:1], v[2:3]
	s_delay_alu instid0(VALU_DEP_2) | instskip(NEXT) | instid1(VALU_DEP_1)
	v_fma_f64 v[2:3], v[6:7], s[2:3], -v[4:5]
	v_add_f64_e32 v[2:3], v[0:1], v[2:3]
	s_clause 0x2
	scratch_load_b64 v[0:1], off, off offset:76 th:TH_LOAD_LU
	scratch_load_b64 v[4:5], off, off offset:84 th:TH_LOAD_LU
	;; [unrolled: 1-line block ×3, first 2 shown]
	v_mul_f64_e32 v[2:3], s[10:11], v[2:3]
	s_wait_loadcnt 0x0
	v_div_fixup_f64 v[0:1], v[6:7], v[4:5], v[0:1]
	s_delay_alu instid0(VALU_DEP_1) | instskip(NEXT) | instid1(VALU_DEP_1)
	v_mul_f64_e32 v[0:1], v[0:1], v[2:3]
	v_fmac_f64_e32 v[0:1], s[8:9], v[94:95]
	global_store_b64 v32, v[0:1], s[6:7] scale_offset
.LBB2_2:
	s_sendmsg sendmsg(MSG_DEALLOC_VGPRS)
	s_endpgm
	.section	.rodata,"a",@progbits
	.p2align	6, 0x0
	.amdhsa_kernel _Z7kernel3iiiiiiiiiiiiddPKdS0_S0_S0_S0_PdS0_S0_S0_S0_S0_S0_S0_
		.amdhsa_group_segment_fixed_size 0
		.amdhsa_private_segment_fixed_size 768
		.amdhsa_kernarg_size 424
		.amdhsa_user_sgpr_count 2
		.amdhsa_user_sgpr_dispatch_ptr 0
		.amdhsa_user_sgpr_queue_ptr 0
		.amdhsa_user_sgpr_kernarg_segment_ptr 1
		.amdhsa_user_sgpr_dispatch_id 0
		.amdhsa_user_sgpr_kernarg_preload_length 0
		.amdhsa_user_sgpr_kernarg_preload_offset 0
		.amdhsa_user_sgpr_private_segment_size 0
		.amdhsa_wavefront_size32 1
		.amdhsa_uses_dynamic_stack 0
		.amdhsa_enable_private_segment 1
		.amdhsa_system_sgpr_workgroup_id_x 1
		.amdhsa_system_sgpr_workgroup_id_y 1
		.amdhsa_system_sgpr_workgroup_id_z 1
		.amdhsa_system_sgpr_workgroup_info 0
		.amdhsa_system_vgpr_workitem_id 2
		.amdhsa_next_free_vgpr 128
		.amdhsa_next_free_sgpr 29
		.amdhsa_named_barrier_count 0
		.amdhsa_reserve_vcc 1
		.amdhsa_float_round_mode_32 0
		.amdhsa_float_round_mode_16_64 0
		.amdhsa_float_denorm_mode_32 3
		.amdhsa_float_denorm_mode_16_64 3
		.amdhsa_fp16_overflow 0
		.amdhsa_memory_ordered 1
		.amdhsa_forward_progress 1
		.amdhsa_inst_pref_size 99
		.amdhsa_round_robin_scheduling 0
		.amdhsa_exception_fp_ieee_invalid_op 0
		.amdhsa_exception_fp_denorm_src 0
		.amdhsa_exception_fp_ieee_div_zero 0
		.amdhsa_exception_fp_ieee_overflow 0
		.amdhsa_exception_fp_ieee_underflow 0
		.amdhsa_exception_fp_ieee_inexact 0
		.amdhsa_exception_int_div_zero 0
	.end_amdhsa_kernel
	.text
.Lfunc_end2:
	.size	_Z7kernel3iiiiiiiiiiiiddPKdS0_S0_S0_S0_PdS0_S0_S0_S0_S0_S0_S0_, .Lfunc_end2-_Z7kernel3iiiiiiiiiiiiddPKdS0_S0_S0_S0_PdS0_S0_S0_S0_S0_S0_S0_
                                        ; -- End function
	.set _Z7kernel3iiiiiiiiiiiiddPKdS0_S0_S0_S0_PdS0_S0_S0_S0_S0_S0_S0_.num_vgpr, 128
	.set _Z7kernel3iiiiiiiiiiiiddPKdS0_S0_S0_S0_PdS0_S0_S0_S0_S0_S0_S0_.num_agpr, 0
	.set _Z7kernel3iiiiiiiiiiiiddPKdS0_S0_S0_S0_PdS0_S0_S0_S0_S0_S0_S0_.numbered_sgpr, 29
	.set _Z7kernel3iiiiiiiiiiiiddPKdS0_S0_S0_S0_PdS0_S0_S0_S0_S0_S0_S0_.num_named_barrier, 0
	.set _Z7kernel3iiiiiiiiiiiiddPKdS0_S0_S0_S0_PdS0_S0_S0_S0_S0_S0_S0_.private_seg_size, 768
	.set _Z7kernel3iiiiiiiiiiiiddPKdS0_S0_S0_S0_PdS0_S0_S0_S0_S0_S0_S0_.uses_vcc, 1
	.set _Z7kernel3iiiiiiiiiiiiddPKdS0_S0_S0_S0_PdS0_S0_S0_S0_S0_S0_S0_.uses_flat_scratch, 1
	.set _Z7kernel3iiiiiiiiiiiiddPKdS0_S0_S0_S0_PdS0_S0_S0_S0_S0_S0_S0_.has_dyn_sized_stack, 0
	.set _Z7kernel3iiiiiiiiiiiiddPKdS0_S0_S0_S0_PdS0_S0_S0_S0_S0_S0_S0_.has_recursion, 0
	.set _Z7kernel3iiiiiiiiiiiiddPKdS0_S0_S0_S0_PdS0_S0_S0_S0_S0_S0_S0_.has_indirect_call, 0
	.section	.AMDGPU.csdata,"",@progbits
; Kernel info:
; codeLenInByte = 12628
; TotalNumSgprs: 31
; NumVgprs: 128
; ScratchSize: 768
; MemoryBound: 0
; FloatMode: 240
; IeeeMode: 1
; LDSByteSize: 0 bytes/workgroup (compile time only)
; SGPRBlocks: 0
; VGPRBlocks: 7
; NumSGPRsForWavesPerEU: 31
; NumVGPRsForWavesPerEU: 128
; NamedBarCnt: 0
; Occupancy: 8
; WaveLimiterHint : 0
; COMPUTE_PGM_RSRC2:SCRATCH_EN: 1
; COMPUTE_PGM_RSRC2:USER_SGPR: 2
; COMPUTE_PGM_RSRC2:TRAP_HANDLER: 0
; COMPUTE_PGM_RSRC2:TGID_X_EN: 1
; COMPUTE_PGM_RSRC2:TGID_Y_EN: 1
; COMPUTE_PGM_RSRC2:TGID_Z_EN: 1
; COMPUTE_PGM_RSRC2:TIDIG_COMP_CNT: 2
	.text
	.protected	_Z7kernel4iiiiiiiiiiiiddPKdS0_S0_S0_S0_PdS0_S0_S0_S0_S0_S0_S0_ ; -- Begin function _Z7kernel4iiiiiiiiiiiiddPKdS0_S0_S0_S0_PdS0_S0_S0_S0_S0_S0_S0_
	.globl	_Z7kernel4iiiiiiiiiiiiddPKdS0_S0_S0_S0_PdS0_S0_S0_S0_S0_S0_S0_
	.p2align	8
	.type	_Z7kernel4iiiiiiiiiiiiddPKdS0_S0_S0_S0_PdS0_S0_S0_S0_S0_S0_S0_,@function
_Z7kernel4iiiiiiiiiiiiddPKdS0_S0_S0_S0_PdS0_S0_S0_S0_S0_S0_S0_: ; @_Z7kernel4iiiiiiiiiiiiddPKdS0_S0_S0_S0_PdS0_S0_S0_S0_S0_S0_S0_
; %bb.0:
	s_clause 0x1
	s_load_b64 s[2:3], s[0:1], 0xb4
	s_load_b256 s[16:23], s[0:1], 0x0
	s_bfe_u32 s8, ttmp6, 0x40010
	s_bfe_u32 s5, ttmp6, 0x40014
	;; [unrolled: 1-line block ×3, first 2 shown]
	s_and_b32 s7, ttmp7, 0xffff
	s_add_co_i32 s8, s8, 1
	s_lshr_b32 s4, ttmp7, 16
	s_add_co_i32 s5, s5, 1
	s_add_co_i32 s11, s11, 1
	s_bfe_u32 s9, ttmp6, 0x40004
	s_mul_i32 s8, s7, s8
	s_bfe_u32 s6, ttmp6, 0x40008
	s_and_b32 s10, ttmp6, 15
	s_mul_i32 s5, s4, s5
	s_mul_i32 s11, ttmp9, s11
	s_add_co_i32 s9, s9, s8
	s_getreg_b32 s8, hwreg(HW_REG_IB_STS2, 6, 4)
	s_add_co_i32 s6, s6, s5
	s_add_co_i32 s10, s10, s11
	s_wait_kmcnt 0x0
	s_and_b32 s3, s3, 0xffff
	s_lshr_b32 s5, s2, 16
	s_and_b32 s2, s2, 0xffff
	s_cmp_eq_u32 s8, 0
	v_and_b32_e32 v1, 0x3ff, v0
	s_cselect_b32 s8, ttmp9, s10
	v_bfe_u32 v2, v0, 10, 10
	s_mul_i32 s8, s8, s2
	s_cselect_b32 s2, s7, s9
	v_bfe_u32 v0, v0, 20, 10
	s_mul_i32 s2, s2, s5
	s_cselect_b32 s4, s4, s6
	v_add3_u32 v4, s8, s16, v1
	v_add3_u32 v3, s2, s18, v2
	s_mul_i32 s4, s4, s3
	s_delay_alu instid0(SALU_CYCLE_1) | instskip(NEXT) | instid1(VALU_DEP_3)
	v_add3_u32 v2, s4, s20, v0
	v_cmp_gt_i32_e32 vcc_lo, s17, v4
	s_delay_alu instid0(VALU_DEP_3) | instskip(NEXT) | instid1(VALU_DEP_3)
	v_cmp_gt_i32_e64 s2, s19, v3
	v_cmp_gt_i32_e64 s3, s21, v2
	s_and_b32 s2, vcc_lo, s2
	s_delay_alu instid0(SALU_CYCLE_1) | instskip(NEXT) | instid1(SALU_CYCLE_1)
	s_and_b32 s2, s2, s3
	s_and_saveexec_b32 s3, s2
	s_cbranch_execz .LBB3_2
; %bb.1:
	s_clause 0x3
	s_load_b128 s[28:31], s[0:1], 0x98
	s_load_b128 s[24:27], s[0:1], 0x60
	s_load_b256 s[12:19], s[0:1], 0x40
	s_load_b256 s[4:11], s[0:1], 0x20
	v_subrev_nc_u32_e32 v0, s22, v4
	s_sub_co_i32 s3, s23, s22
	s_wait_xcnt 0x0
	s_not_b32 s0, s3
	s_add_co_i32 s3, s3, 1
	v_ashrrev_i32_e32 v1, 31, v0
	s_wait_kmcnt 0x0
	s_delay_alu instid0(VALU_DEP_1)
	v_lshl_add_u64 v[6:7], v[0:1], 3, s[28:29]
	s_clause 0x2
	global_load_b128 v[12:15], v[6:7], off
	global_load_b128 v[54:57], v[6:7], off offset:-16
	global_load_b64 v[60:61], v0, s[28:29] offset:16 scale_offset
	s_sub_co_i32 s1, s5, s4
	s_wait_xcnt 0x0
	v_subrev_nc_u32_e32 v0, s4, v3
	s_mul_i32 s0, s4, s0
	s_add_co_i32 s4, s1, 1
	s_delay_alu instid0(SALU_CYCLE_1) | instskip(NEXT) | instid1(SALU_CYCLE_1)
	s_mul_i32 s4, s4, s3
	v_mul_lo_u32 v5, v2, s4
	v_ashrrev_i32_e32 v1, 31, v0
	s_mul_i32 s1, s4, s6
	s_delay_alu instid0(SALU_CYCLE_1) | instskip(NEXT) | instid1(VALU_DEP_1)
	s_add_co_i32 s1, s22, s1
	v_lshl_add_u64 v[6:7], v[0:1], 3, s[30:31]
	s_clause 0x2
	global_load_b128 v[46:49], v[6:7], off
	global_load_b128 v[50:53], v[6:7], off offset:-16
	global_load_b64 v[44:45], v0, s[30:31] offset:16 scale_offset
	s_wait_xcnt 0x1
	v_mul_lo_u32 v7, v3, s3
	s_sub_co_i32 s1, s0, s1
	s_sub_co_i32 s0, s7, s6
	v_add_nc_u32_e32 v6, s1, v4
	s_add_co_i32 s0, s0, 1
	v_add_nc_u32_e32 v3, -2, v3
	s_mul_i32 s0, s0, s4
	s_delay_alu instid0(SALU_CYCLE_1) | instskip(NEXT) | instid1(VALU_DEP_1)
	s_lshl_b32 s2, s0, 1
	v_mul_lo_u32 v3, v3, s3
	s_delay_alu instid0(VALU_DEP_4) | instskip(NEXT) | instid1(VALU_DEP_1)
	v_add_nc_u32_e32 v18, v7, v6
	v_add_nc_u32_e32 v8, v18, v5
	s_clause 0x1
	global_load_b64 v[10:11], v8, s[24:25] scale_offset
	global_load_b64 v[78:79], v8, s[14:15] scale_offset
	s_wait_loadcnt 0x4
	s_wait_xcnt 0x2
	v_mul_f64_e32 v[0:1], v[12:13], v[46:47]
	s_wait_loadcnt 0x1
	s_delay_alu instid0(VALU_DEP_1) | instskip(NEXT) | instid1(VALU_DEP_1)
	v_div_scale_f64 v[16:17], null, v[10:11], v[10:11], v[0:1]
	v_rcp_f64_e32 v[20:21], v[16:17]
	v_nop
	s_delay_alu instid0(TRANS32_DEP_1) | instskip(NEXT) | instid1(VALU_DEP_1)
	v_fma_f64 v[22:23], -v[16:17], v[20:21], 1.0
	v_fmac_f64_e32 v[20:21], v[20:21], v[22:23]
	s_delay_alu instid0(VALU_DEP_1) | instskip(NEXT) | instid1(VALU_DEP_1)
	v_fma_f64 v[22:23], -v[16:17], v[20:21], 1.0
	v_fmac_f64_e32 v[20:21], v[20:21], v[22:23]
	v_div_scale_f64 v[22:23], vcc_lo, v[0:1], v[10:11], v[0:1]
	s_delay_alu instid0(VALU_DEP_1) | instskip(NEXT) | instid1(VALU_DEP_1)
	v_mul_f64_e32 v[24:25], v[22:23], v[20:21]
	v_fma_f64 v[16:17], -v[16:17], v[24:25], v[22:23]
	s_delay_alu instid0(VALU_DEP_1) | instskip(SKIP_2) | instid1(SALU_CYCLE_1)
	v_div_fmas_f64 v[16:17], v[16:17], v[20:21], v[24:25]
	v_add3_u32 v25, v5, v7, s1
	s_sub_co_i32 s1, s1, s0
	v_dual_add_nc_u32 v31, s1, v4 :: v_dual_add_nc_u32 v30, s1, v7
	s_mul_i32 s1, s0, 3
	s_delay_alu instid0(VALU_DEP_1) | instskip(NEXT) | instid1(VALU_DEP_1)
	v_dual_add_nc_u32 v19, v7, v31 :: v_dual_add_nc_u32 v7, 1, v4
	v_dual_add_nc_u32 v9, v19, v5 :: v_dual_add_nc_u32 v121, v30, v7
	s_delay_alu instid0(VALU_DEP_1) | instskip(NEXT) | instid1(VALU_DEP_2)
	v_dual_add_nc_u32 v26, v25, v7 :: v_dual_add_nc_u32 v24, s0, v9
	v_add_nc_u32_e32 v7, v121, v5
	global_load_b64 v[26:27], v26, s[14:15] scale_offset
	v_add_nc_u32_e32 v89, s2, v24
	scratch_store_b32 off, v7, off offset:176 ; 4-byte Folded Spill
	s_wait_xcnt 0x0
	v_add_nc_u32_e32 v7, s0, v7
	global_load_b64 v[80:81], v89, s[12:13] scale_offset
	global_load_b64 v[28:29], v7, s[18:19] scale_offset
	v_div_fixup_f64 v[0:1], v[16:17], v[10:11], v[0:1]
	s_wait_xcnt 0x0
	v_add_nc_u32_e32 v7, s2, v7
	scratch_store_b64 off, v[0:1], off      ; 8-byte Folded Spill
	s_wait_xcnt 0x0
	v_div_scale_f64 v[0:1], null, v[46:47], v[46:47], 1.0
	s_delay_alu instid0(VALU_DEP_1) | instskip(SKIP_1) | instid1(TRANS32_DEP_1)
	v_rcp_f64_e32 v[10:11], v[0:1]
	v_nop
	v_fma_f64 v[16:17], -v[0:1], v[10:11], 1.0
	s_delay_alu instid0(VALU_DEP_1) | instskip(NEXT) | instid1(VALU_DEP_1)
	v_fmac_f64_e32 v[10:11], v[10:11], v[16:17]
	v_fma_f64 v[16:17], -v[0:1], v[10:11], 1.0
	s_delay_alu instid0(VALU_DEP_1) | instskip(SKIP_1) | instid1(VALU_DEP_1)
	v_fmac_f64_e32 v[10:11], v[10:11], v[16:17]
	v_div_scale_f64 v[16:17], vcc_lo, 1.0, v[46:47], 1.0
	v_mul_f64_e32 v[20:21], v[16:17], v[10:11]
	s_delay_alu instid0(VALU_DEP_1) | instskip(NEXT) | instid1(VALU_DEP_1)
	v_fma_f64 v[0:1], -v[0:1], v[20:21], v[16:17]
	v_div_fmas_f64 v[0:1], v[0:1], v[10:11], v[20:21]
	s_delay_alu instid0(VALU_DEP_1) | instskip(SKIP_1) | instid1(VALU_DEP_1)
	v_div_fixup_f64 v[34:35], v[0:1], v[46:47], 1.0
	v_div_scale_f64 v[0:1], null, v[12:13], v[12:13], 1.0
	v_rcp_f64_e32 v[10:11], v[0:1]
	v_nop
	s_delay_alu instid0(TRANS32_DEP_1) | instskip(NEXT) | instid1(VALU_DEP_1)
	v_fma_f64 v[16:17], -v[0:1], v[10:11], 1.0
	v_fmac_f64_e32 v[10:11], v[10:11], v[16:17]
	s_delay_alu instid0(VALU_DEP_1) | instskip(NEXT) | instid1(VALU_DEP_1)
	v_fma_f64 v[16:17], -v[0:1], v[10:11], 1.0
	v_fmac_f64_e32 v[10:11], v[10:11], v[16:17]
	v_div_scale_f64 v[16:17], vcc_lo, 1.0, v[12:13], 1.0
	s_delay_alu instid0(VALU_DEP_1) | instskip(NEXT) | instid1(VALU_DEP_1)
	v_mul_f64_e32 v[20:21], v[16:17], v[10:11]
	v_fma_f64 v[0:1], -v[0:1], v[20:21], v[16:17]
	s_delay_alu instid0(VALU_DEP_1) | instskip(NEXT) | instid1(VALU_DEP_1)
	v_div_fmas_f64 v[0:1], v[0:1], v[10:11], v[20:21]
	v_div_fixup_f64 v[36:37], v[0:1], v[12:13], 1.0
	v_add_nc_u32_e32 v0, -2, v4
	s_delay_alu instid0(VALU_DEP_1) | instskip(SKIP_3) | instid1(VALU_DEP_1)
	v_dual_add_nc_u32 v1, v25, v0 :: v_dual_add_nc_u32 v40, v30, v0
	global_load_b64 v[10:11], v1, s[14:15] scale_offset
	s_wait_xcnt 0x0
	v_add_nc_u32_e32 v1, v40, v5
	v_add_nc_u32_e32 v0, s0, v1
	global_load_b64 v[16:17], v0, s[18:19] scale_offset
	v_mov_b32_e32 v43, v1
	v_mul_f64_e32 v[62:63], v[36:37], v[34:35]
	s_wait_loadcnt 0x1
	scratch_store_b64 off, v[10:11], off offset:156 ; 8-byte Folded Spill
	s_wait_loadcnt 0x0
	scratch_store_b64 off, v[16:17], off offset:164 ; 8-byte Folded Spill
	s_wait_xcnt 0x2
	v_mul_f64_e32 v[0:1], v[10:11], v[16:17]
	s_wait_xcnt 0x1
	s_delay_alu instid0(VALU_DEP_1) | instskip(SKIP_1) | instid1(VALU_DEP_1)
	v_mul_f64_e32 v[10:11], v[16:17], v[0:1]
	v_dual_add_nc_u32 v0, -1, v4 :: v_dual_add_nc_u32 v4, 2, v4
	v_dual_add_nc_u32 v1, v25, v0 :: v_dual_add_nc_u32 v120, v30, v0
	s_delay_alu instid0(VALU_DEP_2)
	v_dual_add_nc_u32 v25, v25, v4 :: v_dual_add_nc_u32 v42, v30, v4
	s_clause 0x1
	global_load_b64 v[16:17], v1, s[14:15] scale_offset
	global_load_b64 v[32:33], v25, s[14:15] scale_offset
	s_wait_xcnt 0x1
	v_dual_add_nc_u32 v1, v120, v5 :: v_dual_add_nc_u32 v4, v42, v5
	s_clause 0x1
	scratch_store_b64 off, v[28:29], off offset:188
	scratch_store_b64 off, v[26:27], off offset:180
	s_wait_xcnt 0x0
	v_mul_f64_e32 v[26:27], v[26:27], v[28:29]
	v_dual_mov_b32 v41, v1 :: v_dual_add_nc_u32 v0, s0, v1
	scratch_store_b32 off, v4, off offset:224 ; 4-byte Folded Spill
	s_wait_xcnt 0x0
	v_add_nc_u32_e32 v4, s0, v4
	s_clause 0x1
	global_load_b64 v[20:21], v0, s[18:19] scale_offset
	global_load_b64 v[58:59], v4, s[18:19] scale_offset
	s_wait_xcnt 0x0
	v_dual_mul_f64 v[26:27], v[28:29], v[26:27] :: v_dual_add_nc_u32 v4, s2, v4
	s_delay_alu instid0(VALU_DEP_1)
	v_mul_f64_e32 v[28:29], v[14:15], v[26:27]
	s_wait_loadcnt 0x3
	scratch_store_b64 off, v[16:17], off offset:140 ; 8-byte Folded Spill
	s_wait_loadcnt 0x2
	scratch_store_b64 off, v[32:33], off offset:228 ; 8-byte Folded Spill
	;; [unrolled: 2-line block ×3, first 2 shown]
	v_mul_f64_e32 v[0:1], v[16:17], v[20:21]
	s_wait_loadcnt 0x0
	s_wait_xcnt 0x1
	v_mul_f64_e32 v[32:33], v[32:33], v[58:59]
	s_delay_alu instid0(VALU_DEP_2)
	v_mul_f64_e32 v[16:17], v[20:21], v[0:1]
	global_load_b64 v[0:1], v24, s[18:19] scale_offset
	v_mul_f64_e32 v[32:33], v[58:59], v[32:33]
	s_wait_xcnt 0x1
	v_mul_f64_e32 v[20:21], v[56:57], v[16:17]
	s_wait_loadcnt 0x0
	v_mul_f64_e32 v[22:23], v[78:79], v[0:1]
	s_delay_alu instid0(VALU_DEP_1) | instskip(NEXT) | instid1(VALU_DEP_1)
	v_mul_f64_e32 v[0:1], v[0:1], v[22:23]
	v_mul_f64_e32 v[22:23], v[12:13], v[0:1]
	s_delay_alu instid0(VALU_DEP_1) | instskip(SKIP_2) | instid1(VALU_DEP_3)
	v_fma_f64 v[38:39], v[54:55], v[10:11], v[22:23]
	v_fma_f64 v[10:11], v[54:55], v[10:11], v[28:29]
	;; [unrolled: 1-line block ×3, first 2 shown]
	v_fmamk_f64 v[38:39], v[38:39], 0xbfe80000, v[20:21]
	v_fmac_f64_e32 v[20:21], v[60:61], v[32:33]
	s_delay_alu instid0(VALU_DEP_3) | instskip(SKIP_2) | instid1(VALU_DEP_2)
	v_fmac_f64_e32 v[10:11], 0x40080000, v[16:17]
	v_fma_f64 v[16:17], v[14:15], v[26:27], v[22:23]
	v_fmac_f64_e32 v[22:23], v[60:61], v[32:33]
	v_fmac_f64_e32 v[20:21], 0x40080000, v[16:17]
	s_delay_alu instid0(VALU_DEP_2)
	v_fmac_f64_e32 v[28:29], 0xbfe80000, v[22:23]
	v_dual_add_nc_u32 v16, s1, v43 :: v_dual_add_nc_u32 v22, s1, v41
	s_clause 0x1
	global_load_b64 v[16:17], v16, s[12:13] scale_offset
	global_load_b64 v[22:23], v22, s[12:13] scale_offset
	s_wait_loadcnt 0x1
	s_wait_xcnt 0x1
	v_add_f64_e64 v[16:17], v[16:17], -v[80:81]
	s_wait_loadcnt 0x0
	v_add_f64_e64 v[22:23], v[22:23], -v[80:81]
	s_delay_alu instid0(VALU_DEP_1) | instskip(NEXT) | instid1(VALU_DEP_1)
	v_mul_f64_e32 v[10:11], v[10:11], v[22:23]
	v_fmac_f64_e32 v[10:11], v[38:39], v[16:17]
	global_load_b64 v[16:17], v7, s[12:13] scale_offset
	s_wait_loadcnt 0x0
	v_add_f64_e64 v[16:17], v[16:17], -v[80:81]
	s_delay_alu instid0(VALU_DEP_1) | instskip(SKIP_3) | instid1(VALU_DEP_1)
	v_fmac_f64_e32 v[10:11], v[20:21], v[16:17]
	global_load_b64 v[16:17], v4, s[12:13] scale_offset
	s_wait_xcnt 0x0
	v_add_nc_u32_e32 v4, v5, v6
	v_add_nc_u32_e32 v6, v4, v3
	s_wait_loadcnt 0x0
	v_add_f64_e64 v[16:17], v[16:17], -v[80:81]
	s_delay_alu instid0(VALU_DEP_1) | instskip(NEXT) | instid1(VALU_DEP_1)
	v_fmac_f64_e32 v[10:11], v[28:29], v[16:17]
	v_mul_f64_e32 v[10:11], 0x3fc5555555555555, v[10:11]
	s_delay_alu instid0(VALU_DEP_1)
	v_fma_f64 v[38:39], v[34:35], v[10:11], 0
	global_load_b64 v[10:11], v6, s[14:15] scale_offset
	s_wait_xcnt 0x0
	v_add_nc_u32_e32 v6, v3, v31
	scratch_store_b128 off, v[54:57], off offset:196 ; 16-byte Folded Spill
	v_dual_add_nc_u32 v3, s3, v3 :: v_dual_add_nc_u32 v7, v6, v5
	scratch_store_b32 off, v6, off offset:132 ; 4-byte Folded Spill
	s_wait_xcnt 0x0
	v_dual_mov_b32 v29, v7 :: v_dual_add_nc_u32 v6, s0, v7
	global_load_b64 v[16:17], v6, s[18:19] scale_offset
	s_wait_loadcnt 0x1
	scratch_store_b64 off, v[10:11], off offset:36 ; 8-byte Folded Spill
	s_wait_loadcnt 0x0
	scratch_store_b64 off, v[16:17], off offset:52 ; 8-byte Folded Spill
	s_wait_xcnt 0x1
	v_dual_mul_f64 v[6:7], v[10:11], v[16:17] :: v_dual_add_nc_u32 v10, v4, v3
	s_delay_alu instid0(VALU_DEP_1)
	v_mul_f64_e32 v[6:7], v[16:17], v[6:7]
	global_load_b64 v[16:17], v10, s[14:15] scale_offset
	s_wait_xcnt 0x0
	v_add_nc_u32_e32 v10, v3, v31
	v_lshl_add_u32 v3, s3, 1, v3
	scratch_store_b32 off, v10, off offset:136 ; 4-byte Folded Spill
	s_wait_xcnt 0x0
	v_add_nc_u32_e32 v10, v10, v5
	scratch_store_b32 off, v89, off offset:8 ; 4-byte Folded Spill
	v_dual_add_nc_u32 v56, v3, v31 :: v_dual_add_nc_u32 v25, s0, v10
	global_load_b64 v[20:21], v25, s[18:19] scale_offset
	scratch_store_b32 off, v10, off offset:12 ; 4-byte Folded Spill
	s_wait_loadcnt 0x0
	scratch_store_b64 off, v[20:21], off offset:16 ; 8-byte Folded Spill
	s_wait_xcnt 0x1
	v_mul_f64_e32 v[10:11], v[16:17], v[20:21]
	s_delay_alu instid0(VALU_DEP_1)
	v_mul_f64_e32 v[10:11], v[20:21], v[10:11]
	s_wait_xcnt 0x0
	v_dual_add_nc_u32 v20, v4, v3 :: v_dual_add_nc_u32 v3, s3, v3
	v_mul_f64_e32 v[0:1], v[46:47], v[0:1]
	s_lshl_b32 s3, s0, 2
	global_load_b64 v[22:23], v20, s[14:15] scale_offset
	s_wait_xcnt 0x0
	v_add_nc_u32_e32 v20, v56, v5
	scratch_store_b64 off, v[16:17], off offset:24 ; 8-byte Folded Spill
	v_add_nc_u32_e32 v4, v4, v3
	v_dual_add_nc_u32 v54, v3, v31 :: v_dual_add_nc_u32 v28, s0, v20
	scratch_store_b32 off, v20, off offset:32 ; 4-byte Folded Spill
	v_add_nc_u32_e32 v3, v54, v5
	global_load_b64 v[26:27], v28, s[18:19] scale_offset
	scratch_store_b32 off, v3, off offset:96 ; 4-byte Folded Spill
	s_wait_xcnt 0x0
	v_add_nc_u32_e32 v3, s0, v3
	global_load_b64 v[30:31], v3, s[18:19] scale_offset
	v_mul_f64_e32 v[16:17], v[52:53], v[10:11]
	v_fma_f64 v[10:11], v[52:53], v[10:11], v[0:1]
	s_wait_loadcnt 0x2
	scratch_store_b64 off, v[22:23], off offset:44 ; 8-byte Folded Spill
	s_wait_loadcnt 0x1
	scratch_store_b64 off, v[26:27], off offset:60 ; 8-byte Folded Spill
	v_mul_f64_e32 v[20:21], v[22:23], v[26:27]
	s_delay_alu instid0(VALU_DEP_1)
	v_mul_f64_e32 v[20:21], v[26:27], v[20:21]
	global_load_b64 v[26:27], v4, s[14:15] scale_offset
	scratch_store_b32 off, v41, off offset:172 ; 4-byte Folded Spill
	v_mul_f64_e32 v[22:23], v[48:49], v[20:21]
	s_wait_loadcnt 0x0
	scratch_store_b64 off, v[26:27], off offset:112 ; 8-byte Folded Spill
	s_wait_xcnt 0x2
	v_mul_f64_e32 v[4:5], v[26:27], v[30:31]
	s_wait_xcnt 0x0
	v_fma_f64 v[26:27], v[50:51], v[6:7], v[0:1]
	v_fma_f64 v[6:7], v[50:51], v[6:7], v[22:23]
	s_delay_alu instid0(VALU_DEP_3) | instskip(NEXT) | instid1(VALU_DEP_3)
	v_mul_f64_e32 v[4:5], v[30:31], v[4:5]
	v_fmamk_f64 v[26:27], v[26:27], 0xbfe80000, v[16:17]
	s_delay_alu instid0(VALU_DEP_3) | instskip(SKIP_1) | instid1(VALU_DEP_4)
	v_fmac_f64_e32 v[6:7], 0x40080000, v[10:11]
	v_fma_f64 v[10:11], v[48:49], v[20:21], v[0:1]
	v_fmac_f64_e32 v[0:1], v[44:45], v[4:5]
	v_fmac_f64_e32 v[16:17], v[44:45], v[4:5]
	v_add_nc_u32_e32 v4, s2, v25
	s_clause 0x1
	scratch_store_b128 off, v[50:53], off offset:72
	scratch_store_b32 off, v4, off offset:68
	global_load_b64 v[4:5], v4, s[12:13] scale_offset
	v_fmac_f64_e32 v[22:23], 0xbfe80000, v[0:1]
	v_add_nc_u32_e32 v0, s1, v29
	scratch_store_b32 off, v29, off offset:92 ; 4-byte Folded Spill
	v_fmac_f64_e32 v[16:17], 0x40080000, v[10:11]
	scratch_store_b32 off, v0, off offset:108 ; 4-byte Folded Spill
	global_load_b64 v[0:1], v0, s[12:13] scale_offset
	s_wait_loadcnt 0x1
	v_add_f64_e64 v[4:5], v[4:5], -v[80:81]
	s_wait_loadcnt 0x0
	v_add_f64_e64 v[0:1], v[0:1], -v[80:81]
	s_delay_alu instid0(VALU_DEP_2) | instskip(NEXT) | instid1(VALU_DEP_1)
	v_mul_f64_e32 v[4:5], v[6:7], v[4:5]
	v_fmac_f64_e32 v[4:5], v[26:27], v[0:1]
	v_add_nc_u32_e32 v0, s2, v28
	s_clause 0x2
	scratch_store_b32 off, v43, off offset:212
	scratch_store_b64 off, v[30:31], off offset:120
	scratch_store_b64 off, v[44:45], off offset:100
	s_wait_xcnt 0x1
	v_add_nc_u32_e32 v31, s2, v9
	scratch_store_b32 off, v0, off offset:88 ; 4-byte Folded Spill
	global_load_b64 v[0:1], v0, s[12:13] scale_offset
	s_wait_loadcnt 0x0
	v_add_f64_e64 v[0:1], v[0:1], -v[80:81]
	s_delay_alu instid0(VALU_DEP_1)
	v_fmac_f64_e32 v[4:5], v[16:17], v[0:1]
	v_add_nc_u32_e32 v0, s2, v3
	s_clause 0x1
	scratch_store_b64 off, v[60:61], off offset:216
	scratch_store_b32 off, v0, off offset:128
	global_load_b64 v[0:1], v0, s[12:13] scale_offset
	s_wait_loadcnt 0x0
	v_add_f64_e64 v[0:1], v[0:1], -v[80:81]
	s_delay_alu instid0(VALU_DEP_1) | instskip(NEXT) | instid1(VALU_DEP_1)
	v_fmac_f64_e32 v[4:5], v[22:23], v[0:1]
	v_mul_f64_e32 v[0:1], 0x3fc5555555555555, v[4:5]
	s_delay_alu instid0(VALU_DEP_1) | instskip(SKIP_1) | instid1(VALU_DEP_1)
	v_fmac_f64_e32 v[38:39], v[36:37], v[0:1]
	v_add_nc_u32_e32 v0, -2, v2
	v_mul_lo_u32 v33, v0, s4
	s_delay_alu instid0(VALU_DEP_1)
	v_dual_add_nc_u32 v0, v33, v18 :: v_dual_add_nc_u32 v28, v33, v19
	v_add_nc_u32_e32 v57, s4, v33
	s_clause 0x1
	global_load_b64 v[60:61], v0, s[14:15] scale_offset
	global_load_b64 v[0:1], v0, s[16:17] scale_offset
	v_add_nc_u32_e32 v25, s2, v28
	v_lshl_add_u32 v55, s4, 1, v57
	v_dual_add_nc_u32 v10, v57, v18 :: v_dual_add_nc_u32 v29, v57, v19
	v_add_nc_u32_e32 v28, s0, v28
	global_load_b64 v[90:91], v25, s[18:19] scale_offset
	v_dual_add_nc_u32 v43, v55, v19 :: v_dual_add_nc_u32 v2, s2, v25
	v_dual_add_nc_u32 v30, s2, v29 :: v_dual_add_nc_u32 v32, s4, v55
	s_delay_alu instid0(VALU_DEP_2)
	v_dual_add_nc_u32 v41, s0, v29 :: v_dual_add_nc_u32 v92, s2, v43
	global_load_b64 v[2:3], v2, s[18:19] scale_offset
	s_clause 0x1
	global_load_b64 v[64:65], v10, s[14:15] scale_offset
	global_load_b64 v[100:101], v10, s[16:17] scale_offset
	s_wait_xcnt 0x0
	v_add_nc_u32_e32 v10, s2, v30
	s_clause 0x1
	global_load_b64 v[16:17], v31, s[18:19] scale_offset
	global_load_b64 v[108:109], v30, s[18:19] scale_offset
	v_dual_add_nc_u32 v88, v32, v19 :: v_dual_add_nc_u32 v29, s2, v28
	global_load_b64 v[104:105], v10, s[18:19] scale_offset
	global_load_b64 v[10:11], v8, s[16:17] scale_offset
	s_wait_xcnt 0x0
	v_dual_add_nc_u32 v8, s2, v31 :: v_dual_add_nc_u32 v93, s2, v88
	global_load_b64 v[8:9], v8, s[18:19] scale_offset
	v_add_nc_u32_e32 v22, s2, v93
	s_wait_loadcnt 0x9
	v_add_f64_e32 v[4:5], v[60:61], v[0:1]
	s_wait_loadcnt 0x5
	v_add_f64_e32 v[26:27], v[64:65], v[100:101]
	;; [unrolled: 2-line block ×3, first 2 shown]
	v_fmac_f64_e32 v[10:11], 2.0, v[78:79]
	s_delay_alu instid0(VALU_DEP_4) | instskip(NEXT) | instid1(VALU_DEP_4)
	v_mul_f64_e32 v[6:7], v[4:5], v[90:91]
	v_mul_f64_e32 v[44:45], v[26:27], v[108:109]
	s_delay_alu instid0(VALU_DEP_4) | instskip(SKIP_1) | instid1(VALU_DEP_1)
	v_mul_f64_e32 v[20:21], v[52:53], v[16:17]
	s_wait_loadcnt 0x0
	v_dual_mul_f64 v[68:69], v[20:21], v[8:9] :: v_dual_add_nc_u32 v20, v55, v18
	s_clause 0x1
	global_load_b64 v[66:67], v20, s[14:15] scale_offset
	global_load_b64 v[102:103], v20, s[16:17] scale_offset
	;; [unrolled: 1-line block ×3, first 2 shown]
	s_wait_xcnt 0x1
	v_dual_add_nc_u32 v20, s2, v92 :: v_dual_add_nc_u32 v18, v32, v18
	v_mul_f64_e32 v[50:51], v[44:45], v[104:105]
	global_load_b64 v[114:115], v20, s[18:19] scale_offset
	s_clause 0x1
	global_load_b64 v[72:73], v18, s[14:15] scale_offset
	global_load_b64 v[20:21], v18, s[16:17] scale_offset
	s_clause 0x1
	global_load_b64 v[18:19], v93, s[18:19] scale_offset
	global_load_b64 v[22:23], v22, s[18:19] scale_offset
	v_fma_f64 v[86:87], v[6:7], v[2:3], v[68:69]
	v_fma_f64 v[44:45], v[44:45], v[104:105], v[68:69]
	s_delay_alu instid0(VALU_DEP_2) | instskip(SKIP_4) | instid1(VALU_DEP_2)
	v_fmamk_f64 v[86:87], v[86:87], 0xbfe80000, v[50:51]
	s_wait_loadcnt 0x6
	v_add_f64_e32 v[76:77], v[66:67], v[102:103]
	s_wait_loadcnt 0x2
	v_add_f64_e32 v[82:83], v[72:73], v[20:21]
	v_mul_f64_e32 v[70:71], v[76:77], v[112:113]
	s_wait_loadcnt 0x1
	s_delay_alu instid0(VALU_DEP_2) | instskip(NEXT) | instid1(VALU_DEP_2)
	v_mul_f64_e32 v[84:85], v[82:83], v[18:19]
	v_mul_f64_e32 v[74:75], v[70:71], v[114:115]
	s_wait_loadcnt 0x0
	s_delay_alu instid0(VALU_DEP_2) | instskip(NEXT) | instid1(VALU_DEP_2)
	v_fmac_f64_e32 v[50:51], v[84:85], v[22:23]
	v_fma_f64 v[6:7], v[6:7], v[2:3], v[74:75]
	s_delay_alu instid0(VALU_DEP_1) | instskip(SKIP_2) | instid1(VALU_DEP_2)
	v_fmac_f64_e32 v[6:7], 0x40080000, v[44:45]
	v_fma_f64 v[44:45], v[70:71], v[114:115], v[68:69]
	v_fmac_f64_e32 v[68:69], v[84:85], v[22:23]
	v_fmac_f64_e32 v[50:51], 0x40080000, v[44:45]
	s_delay_alu instid0(VALU_DEP_2)
	v_fmac_f64_e32 v[74:75], 0xbfe80000, v[68:69]
	s_clause 0x2
	global_load_b64 v[44:45], v28, s[12:13] scale_offset
	global_load_b64 v[68:69], v24, s[12:13] scale_offset
	;; [unrolled: 1-line block ×3, first 2 shown]
	s_wait_loadcnt 0x1
	v_add_f64_e64 v[44:45], v[44:45], -v[68:69]
	s_wait_loadcnt 0x0
	v_add_f64_e64 v[70:71], v[70:71], -v[68:69]
	s_delay_alu instid0(VALU_DEP_1) | instskip(SKIP_1) | instid1(VALU_DEP_1)
	v_mul_f64_e32 v[70:71], v[6:7], v[70:71]
	v_dual_add_nc_u32 v6, s0, v43 :: v_dual_add_nc_u32 v43, s2, v41
	v_dual_add_nc_u32 v7, s0, v88 :: v_dual_add_nc_u32 v94, s2, v6
	s_delay_alu instid0(VALU_DEP_1) | instskip(NEXT) | instid1(VALU_DEP_4)
	v_add_nc_u32_e32 v95, s2, v7
	v_fmac_f64_e32 v[70:71], v[86:87], v[44:45]
	global_load_b64 v[44:45], v6, s[12:13] scale_offset
	s_wait_loadcnt 0x0
	v_add_f64_e64 v[44:45], v[44:45], -v[68:69]
	s_delay_alu instid0(VALU_DEP_1)
	v_fmac_f64_e32 v[70:71], v[50:51], v[44:45]
	global_load_b64 v[44:45], v7, s[12:13] scale_offset
	global_load_b64 v[50:51], v89, s[18:19] scale_offset
	s_wait_loadcnt 0x1
	v_add_f64_e64 v[44:45], v[44:45], -v[68:69]
	global_load_b64 v[68:69], v43, s[18:19] scale_offset
	v_fmac_f64_e32 v[70:71], v[74:75], v[44:45]
	global_load_b64 v[74:75], v29, s[18:19] scale_offset
	v_mul_f64_e32 v[44:45], 0x3fc5555555555555, v[70:71]
	global_load_b64 v[70:71], v94, s[18:19] scale_offset
	s_wait_loadcnt 0x3
	v_mul_f64_e32 v[52:53], v[52:53], v[50:51]
	v_fmac_f64_e32 v[38:39], v[34:35], v[44:45]
	s_delay_alu instid0(VALU_DEP_2) | instskip(SKIP_4) | instid1(VALU_DEP_2)
	v_mul_f64_e32 v[52:53], v[8:9], v[52:53]
	s_wait_loadcnt 0x2
	v_mul_f64_e32 v[26:27], v[26:27], v[68:69]
	s_wait_loadcnt 0x1
	v_mul_f64_e32 v[4:5], v[4:5], v[74:75]
	v_mul_f64_e32 v[44:45], v[104:105], v[26:27]
	s_delay_alu instid0(VALU_DEP_4)
	v_fma_f64 v[26:27], v[104:105], v[26:27], v[52:53]
	s_wait_loadcnt 0x0
	v_mul_f64_e32 v[84:85], v[76:77], v[70:71]
	global_load_b64 v[76:77], v95, s[18:19] scale_offset
	s_wait_xcnt 0x4
	v_fma_f64 v[88:89], v[2:3], v[4:5], v[52:53]
	v_mul_f64_e32 v[86:87], v[114:115], v[84:85]
	s_delay_alu instid0(VALU_DEP_2) | instskip(NEXT) | instid1(VALU_DEP_2)
	v_fmamk_f64 v[88:89], v[88:89], 0xbfe80000, v[44:45]
	v_fma_f64 v[4:5], v[2:3], v[4:5], v[86:87]
	s_delay_alu instid0(VALU_DEP_1) | instskip(SKIP_3) | instid1(VALU_DEP_1)
	v_fmac_f64_e32 v[4:5], 0x40080000, v[26:27]
	v_fma_f64 v[26:27], v[114:115], v[84:85], v[52:53]
	s_wait_loadcnt 0x0
	v_mul_f64_e32 v[82:83], v[82:83], v[76:77]
	v_fmac_f64_e32 v[44:45], v[22:23], v[82:83]
	v_fmac_f64_e32 v[52:53], v[22:23], v[82:83]
	s_delay_alu instid0(VALU_DEP_2) | instskip(NEXT) | instid1(VALU_DEP_2)
	v_fmac_f64_e32 v[44:45], 0x40080000, v[26:27]
	v_fmac_f64_e32 v[86:87], 0xbfe80000, v[52:53]
	s_clause 0x2
	global_load_b64 v[24:25], v25, s[12:13] scale_offset
	global_load_b64 v[26:27], v31, s[12:13] scale_offset
	global_load_b64 v[52:53], v30, s[12:13] scale_offset
	s_clause 0x1
	global_load_b64 v[82:83], v7, s[18:19] scale_offset
	global_load_b64 v[84:85], v28, s[18:19] scale_offset
	s_wait_xcnt 0x1
	v_add3_u32 v7, v32, v42, s0
	global_load_b64 v[110:111], v7, s[12:13] scale_offset
	s_wait_loadcnt 0x4
	v_add_f64_e64 v[24:25], v[24:25], -v[26:27]
	s_wait_loadcnt 0x3
	v_add_f64_e64 v[52:53], v[52:53], -v[26:27]
	s_delay_alu instid0(VALU_DEP_1) | instskip(NEXT) | instid1(VALU_DEP_1)
	v_mul_f64_e32 v[4:5], v[4:5], v[52:53]
	v_fmac_f64_e32 v[4:5], v[88:89], v[24:25]
	global_load_b64 v[24:25], v92, s[12:13] scale_offset
	s_wait_loadcnt 0x0
	v_add_f64_e64 v[24:25], v[24:25], -v[26:27]
	s_delay_alu instid0(VALU_DEP_1) | instskip(SKIP_2) | instid1(VALU_DEP_1)
	v_fmac_f64_e32 v[4:5], v[44:45], v[24:25]
	global_load_b64 v[24:25], v93, s[12:13] scale_offset
	v_mul_f64_e32 v[44:45], v[46:47], v[68:69]
	v_mul_f64_e32 v[44:45], v[68:69], v[44:45]
	s_delay_alu instid0(VALU_DEP_1) | instskip(SKIP_3) | instid1(VALU_DEP_2)
	v_mul_f64_e32 v[44:45], v[46:47], v[44:45]
	s_wait_loadcnt 0x0
	v_add_f64_e64 v[24:25], v[24:25], -v[26:27]
	v_mul_f64_e32 v[26:27], v[46:47], v[74:75]
	v_fmac_f64_e32 v[4:5], v[86:87], v[24:25]
	v_mul_f64_e32 v[24:25], v[12:13], v[90:91]
	s_delay_alu instid0(VALU_DEP_3) | instskip(NEXT) | instid1(VALU_DEP_3)
	v_mul_f64_e32 v[26:27], v[74:75], v[26:27]
	v_mul_f64_e32 v[4:5], 0x3fc5555555555555, v[4:5]
	s_delay_alu instid0(VALU_DEP_3) | instskip(NEXT) | instid1(VALU_DEP_3)
	v_mul_f64_e32 v[24:25], v[90:91], v[24:25]
	v_mul_f64_e32 v[26:27], v[46:47], v[26:27]
	s_delay_alu instid0(VALU_DEP_3) | instskip(SKIP_1) | instid1(VALU_DEP_3)
	v_fmac_f64_e32 v[38:39], v[36:37], v[4:5]
	v_fma_f64 v[4:5], 2.0, v[60:61], v[0:1]
	v_fmac_f64_e32 v[26:27], v[12:13], v[24:25]
	v_mul_f64_e32 v[0:1], v[0:1], v[2:3]
	s_delay_alu instid0(VALU_DEP_3) | instskip(NEXT) | instid1(VALU_DEP_3)
	v_mul_f64_e32 v[4:5], v[4:5], v[2:3]
	v_mul_f64_e32 v[24:25], v[60:61], v[26:27]
	;; [unrolled: 1-line block ×3, first 2 shown]
	s_delay_alu instid0(VALU_DEP_2) | instskip(NEXT) | instid1(VALU_DEP_2)
	v_fmac_f64_e32 v[24:25], v[2:3], v[4:5]
	v_mul_f64_e32 v[26:27], v[108:109], v[26:27]
	v_fma_f64 v[4:5], 2.0, v[64:65], v[100:101]
	s_delay_alu instid0(VALU_DEP_2) | instskip(NEXT) | instid1(VALU_DEP_2)
	v_fmac_f64_e32 v[44:45], v[12:13], v[26:27]
	v_mul_f64_e32 v[4:5], v[4:5], v[104:105]
	s_delay_alu instid0(VALU_DEP_2) | instskip(SKIP_1) | instid1(VALU_DEP_2)
	v_mul_f64_e32 v[26:27], v[64:65], v[44:45]
	v_mul_f64_e32 v[44:45], v[46:47], v[76:77]
	v_fmac_f64_e32 v[26:27], v[104:105], v[4:5]
	v_mul_f64_e32 v[4:5], v[10:11], v[8:9]
	v_mul_f64_e32 v[10:11], v[12:13], v[16:17]
	s_delay_alu instid0(VALU_DEP_4) | instskip(NEXT) | instid1(VALU_DEP_2)
	v_mul_f64_e32 v[44:45], v[76:77], v[44:45]
	v_mul_f64_e32 v[10:11], v[16:17], v[10:11]
	;; [unrolled: 1-line block ×3, first 2 shown]
	s_delay_alu instid0(VALU_DEP_3) | instskip(NEXT) | instid1(VALU_DEP_2)
	v_mul_f64_e32 v[44:45], v[46:47], v[44:45]
	v_mul_f64_e32 v[16:17], v[50:51], v[16:17]
	s_delay_alu instid0(VALU_DEP_1) | instskip(NEXT) | instid1(VALU_DEP_1)
	v_mul_f64_e32 v[16:17], v[46:47], v[16:17]
	v_fmac_f64_e32 v[16:17], v[12:13], v[10:11]
	s_delay_alu instid0(VALU_DEP_1) | instskip(SKIP_3) | instid1(VALU_DEP_4)
	v_mul_f64_e32 v[10:11], v[78:79], v[16:17]
	v_mul_f64_e32 v[16:17], v[46:47], v[70:71]
	v_add3_u32 v78, v57, v121, s0
	v_add3_u32 v79, v57, v120, s0
	v_fmac_f64_e32 v[10:11], v[8:9], v[4:5]
	v_mul_f64_e32 v[8:9], v[12:13], v[112:113]
	v_mul_f64_e32 v[16:17], v[70:71], v[16:17]
	v_fma_f64 v[4:5], 2.0, v[66:67], v[102:103]
	s_delay_alu instid0(VALU_DEP_3) | instskip(NEXT) | instid1(VALU_DEP_3)
	v_mul_f64_e32 v[8:9], v[112:113], v[8:9]
	v_mul_f64_e32 v[16:17], v[46:47], v[16:17]
	s_delay_alu instid0(VALU_DEP_3) | instskip(NEXT) | instid1(VALU_DEP_2)
	v_mul_f64_e32 v[4:5], v[4:5], v[114:115]
	v_fmac_f64_e32 v[16:17], v[12:13], v[8:9]
	s_delay_alu instid0(VALU_DEP_1) | instskip(SKIP_1) | instid1(VALU_DEP_2)
	v_mul_f64_e32 v[8:9], v[66:67], v[16:17]
	v_mul_f64_e32 v[16:17], v[12:13], v[18:19]
	v_fmac_f64_e32 v[8:9], v[114:115], v[4:5]
	s_delay_alu instid0(VALU_DEP_2) | instskip(SKIP_1) | instid1(VALU_DEP_2)
	v_mul_f64_e32 v[16:17], v[18:19], v[16:17]
	v_fma_f64 v[4:5], 2.0, v[72:73], v[20:21]
	v_fmac_f64_e32 v[44:45], v[12:13], v[16:17]
	s_delay_alu instid0(VALU_DEP_2) | instskip(NEXT) | instid1(VALU_DEP_2)
	v_mul_f64_e32 v[4:5], v[4:5], v[22:23]
	v_mul_f64_e32 v[16:17], v[72:73], v[44:45]
	v_add_f64_e32 v[44:45], v[26:27], v[10:11]
	s_delay_alu instid0(VALU_DEP_2) | instskip(SKIP_2) | instid1(VALU_DEP_2)
	v_fmac_f64_e32 v[16:17], v[22:23], v[4:5]
	v_add_f64_e32 v[4:5], v[24:25], v[10:11]
	v_add_f64_e32 v[24:25], v[24:25], v[8:9]
	v_fmamk_f64 v[4:5], v[4:5], 0xbfe80000, v[26:27]
	s_delay_alu instid0(VALU_DEP_2)
	v_fmac_f64_e32 v[24:25], 0x40080000, v[44:45]
	v_add_f64_e32 v[44:45], v[10:11], v[8:9]
	v_add_f64_e32 v[10:11], v[10:11], v[16:17]
	;; [unrolled: 1-line block ×3, first 2 shown]
	global_load_b64 v[16:17], v43, s[12:13] scale_offset
	v_fmac_f64_e32 v[8:9], 0xbfe80000, v[10:11]
	global_load_b64 v[10:11], v29, s[12:13] scale_offset
	v_fmac_f64_e32 v[26:27], 0x40080000, v[44:45]
	s_wait_loadcnt 0x1
	v_add_f64_e64 v[16:17], v[16:17], -v[80:81]
	s_wait_loadcnt 0x0
	v_add_f64_e64 v[10:11], v[10:11], -v[80:81]
	s_delay_alu instid0(VALU_DEP_2) | instskip(NEXT) | instid1(VALU_DEP_1)
	v_mul_f64_e32 v[16:17], v[24:25], v[16:17]
	v_fmac_f64_e32 v[16:17], v[4:5], v[10:11]
	global_load_b64 v[4:5], v94, s[12:13] scale_offset
	s_wait_loadcnt 0x0
	v_add_f64_e64 v[4:5], v[4:5], -v[80:81]
	s_delay_alu instid0(VALU_DEP_1)
	v_fmac_f64_e32 v[16:17], v[26:27], v[4:5]
	s_clause 0x1
	global_load_b64 v[4:5], v95, s[12:13] scale_offset
	global_load_b64 v[26:27], v78, s[12:13] scale_offset
	s_wait_loadcnt 0x1
	v_add_f64_e64 v[4:5], v[4:5], -v[80:81]
	v_mul_f64_e32 v[80:81], v[0:1], v[84:85]
	s_delay_alu instid0(VALU_DEP_2)
	v_fmac_f64_e32 v[16:17], v[8:9], v[4:5]
	v_mul_f64_e32 v[8:9], v[20:21], v[22:23]
	v_add3_u32 v20, v32, v121, s0
	v_add3_u32 v21, v32, v120, s0
	s_clause 0x1
	global_load_b64 v[92:93], v20, s[12:13] scale_offset
	global_load_b64 v[88:89], v21, s[12:13] scale_offset
	v_mul_f64_e32 v[4:5], 0x3fc5555555555555, v[16:17]
	v_add3_u32 v16, v32, v40, s0
	v_mul_f64_e32 v[22:23], v[8:9], v[82:83]
	global_load_b64 v[96:97], v16, s[12:13] scale_offset
	v_add_nc_u32_e32 v7, s2, v7
	global_load_b64 v[106:107], v7, s[12:13] scale_offset
	s_wait_xcnt 0x0
	v_add_nc_u32_e32 v7, s2, v16
	global_load_b64 v[98:99], v7, s[12:13] scale_offset
	s_wait_xcnt 0x0
	;; [unrolled: 3-line block ×4, first 2 shown]
	v_add3_u32 v7, v33, v42, s0
	scratch_store_b64 off, v[22:23], off offset:236 ; 8-byte Folded Spill
	global_load_b64 v[24:25], v7, s[12:13] scale_offset
	s_wait_loadcnt 0x6
	v_add_f64_e64 v[10:11], v[92:93], -v[88:89]
	s_wait_loadcnt 0x5
	v_add_f64_e64 v[8:9], v[110:111], -v[96:97]
	;; [unrolled: 2-line block ×3, first 2 shown]
	s_delay_alu instid0(VALU_DEP_2) | instskip(NEXT) | instid1(VALU_DEP_2)
	v_mul_f64_e32 v[8:9], 0xbfb5555555555555, v[8:9]
	v_mul_f64_e32 v[16:17], 0xbfb5555555555555, v[16:17]
	s_delay_alu instid0(VALU_DEP_2) | instskip(SKIP_3) | instid1(VALU_DEP_3)
	v_fmac_f64_e32 v[8:9], 0x3fe5555555555555, v[10:11]
	v_mul_f64_e32 v[10:11], v[72:73], v[18:19]
	s_wait_loadcnt 0x1
	v_add_f64_e64 v[18:19], v[94:95], -v[86:87]
	v_mul_f64_e32 v[8:9], v[22:23], v[8:9]
	s_delay_alu instid0(VALU_DEP_3) | instskip(NEXT) | instid1(VALU_DEP_3)
	v_mul_f64_e32 v[10:11], v[10:11], v[82:83]
	v_fmac_f64_e32 v[16:17], 0x3fe5555555555555, v[18:19]
	s_delay_alu instid0(VALU_DEP_1) | instskip(SKIP_3) | instid1(VALU_DEP_1)
	v_mul_f64_e32 v[10:11], v[10:11], v[16:17]
	v_add3_u32 v16, v33, v120, s0
	global_load_b64 v[118:119], v16, s[12:13] scale_offset
	v_mul_f64_e32 v[10:11], v[12:13], v[10:11]
	v_mul_f64_e32 v[122:123], v[34:35], v[10:11]
	s_delay_alu instid0(VALU_DEP_1)
	v_fmac_f64_e32 v[122:123], v[34:35], v[8:9]
	v_add3_u32 v8, v33, v40, s0
	v_add3_u32 v9, v33, v121, s0
	global_load_b64 v[126:127], v8, s[12:13] scale_offset
	s_wait_xcnt 0x2
	v_add_nc_u32_e32 v7, s2, v7
	s_clause 0x1
	global_load_b64 v[124:125], v9, s[12:13] scale_offset
	global_load_b64 v[20:21], v7, s[12:13] scale_offset
	s_wait_xcnt 0x0
	v_add_nc_u32_e32 v7, s2, v8
	global_load_b64 v[52:53], v7, s[12:13] scale_offset
	s_wait_xcnt 0x0
	v_add_nc_u32_e32 v7, s2, v9
	;; [unrolled: 3-line block ×3, first 2 shown]
	global_load_b64 v[116:117], v7, s[12:13] scale_offset
	s_wait_xcnt 0x0
	v_add3_u32 v7, v55, v40, s0
	global_load_b64 v[30:31], v7, s[12:13] scale_offset
	s_wait_loadcnt 0x6
	v_add_f64_e64 v[0:1], v[24:25], -v[126:127]
	s_wait_loadcnt 0x5
	v_add_f64_e64 v[2:3], v[124:125], -v[118:119]
	;; [unrolled: 2-line block ×4, first 2 shown]
	s_delay_alu instid0(VALU_DEP_4) | instskip(NEXT) | instid1(VALU_DEP_3)
	v_mul_f64_e32 v[0:1], 0xbfb5555555555555, v[0:1]
	v_mul_f64_e32 v[10:11], 0xbfb5555555555555, v[10:11]
	s_delay_alu instid0(VALU_DEP_2) | instskip(SKIP_1) | instid1(VALU_DEP_3)
	v_fmac_f64_e32 v[0:1], 0x3fe5555555555555, v[2:3]
	v_mul_f64_e32 v[2:3], v[60:61], v[90:91]
	v_fmac_f64_e32 v[10:11], 0x3fe5555555555555, v[18:19]
	v_add3_u32 v18, v55, v121, s0
	v_add3_u32 v19, v55, v120, s0
	global_load_b64 v[120:121], v79, s[12:13] scale_offset
	v_mul_f64_e32 v[0:1], v[80:81], v[0:1]
	v_mul_f64_e32 v[2:3], v[2:3], v[84:85]
	s_delay_alu instid0(VALU_DEP_1) | instskip(NEXT) | instid1(VALU_DEP_1)
	v_mul_f64_e32 v[2:3], v[2:3], v[10:11]
	v_mul_f64_e32 v[2:3], v[12:13], v[2:3]
	s_delay_alu instid0(VALU_DEP_1) | instskip(NEXT) | instid1(VALU_DEP_1)
	v_mul_f64_e32 v[2:3], v[34:35], v[2:3]
	v_fmac_f64_e32 v[2:3], v[34:35], v[0:1]
	s_delay_alu instid0(VALU_DEP_1)
	v_add_f64_e64 v[0:1], v[122:123], -v[2:3]
	global_load_b64 v[122:123], v18, s[12:13] scale_offset
	v_mul_f64_e32 v[90:91], 0xbfb5555555555555, v[0:1]
	v_mul_f64_e32 v[0:1], v[102:103], v[114:115]
	global_load_b64 v[102:103], v6, s[18:19] scale_offset
	s_wait_xcnt 0x0
	v_add3_u32 v6, v55, v42, s0
	s_clause 0x1
	global_load_b64 v[114:115], v19, s[12:13] scale_offset
	global_load_b64 v[8:9], v6, s[12:13] scale_offset
	v_fmac_f64_e32 v[90:91], v[62:63], v[4:5]
	s_wait_loadcnt 0x2
	v_mul_f64_e32 v[62:63], v[0:1], v[102:103]
	s_wait_loadcnt 0x1
	v_add_f64_e64 v[2:3], v[122:123], -v[114:115]
	s_wait_loadcnt 0x0
	v_add_f64_e64 v[0:1], v[8:9], -v[30:31]
	s_delay_alu instid0(VALU_DEP_1) | instskip(NEXT) | instid1(VALU_DEP_1)
	v_mul_f64_e32 v[0:1], 0xbfb5555555555555, v[0:1]
	v_fmac_f64_e32 v[0:1], 0x3fe5555555555555, v[2:3]
	v_mul_f64_e32 v[2:3], v[66:67], v[112:113]
	s_delay_alu instid0(VALU_DEP_2) | instskip(NEXT) | instid1(VALU_DEP_2)
	v_dual_mul_f64 v[4:5], v[62:63], v[0:1] :: v_dual_add_nc_u32 v0, s2, v6
	v_mul_f64_e32 v[2:3], v[2:3], v[102:103]
	v_add3_u32 v1, v57, v40, s0
	global_load_b64 v[16:17], v0, s[12:13] scale_offset
	s_wait_xcnt 0x0
	v_add_nc_u32_e32 v0, s2, v7
	global_load_b64 v[28:29], v0, s[12:13] scale_offset
	s_wait_xcnt 0x0
	v_add_nc_u32_e32 v0, s2, v18
	;; [unrolled: 3-line block ×3, first 2 shown]
	global_load_b64 v[112:113], v0, s[12:13] scale_offset
	s_wait_xcnt 0x0
	v_add3_u32 v0, v57, v42, s0
	s_wait_loadcnt 0x2
	v_add_f64_e64 v[10:11], v[16:17], -v[28:29]
	s_wait_loadcnt 0x0
	v_add_f64_e64 v[18:19], v[44:45], -v[112:113]
	s_delay_alu instid0(VALU_DEP_2) | instskip(NEXT) | instid1(VALU_DEP_1)
	v_mul_f64_e32 v[10:11], 0xbfb5555555555555, v[10:11]
	v_fmac_f64_e32 v[10:11], 0x3fe5555555555555, v[18:19]
	global_load_b64 v[18:19], v1, s[12:13] scale_offset
	v_mul_f64_e32 v[2:3], v[2:3], v[10:11]
	v_add_f64_e64 v[10:11], v[26:27], -v[120:121]
	s_delay_alu instid0(VALU_DEP_2) | instskip(NEXT) | instid1(VALU_DEP_1)
	v_mul_f64_e32 v[2:3], v[12:13], v[2:3]
	v_mul_f64_e32 v[6:7], v[34:35], v[2:3]
	;; [unrolled: 1-line block ×3, first 2 shown]
	global_load_b64 v[104:105], v41, s[18:19] scale_offset
	v_fmac_f64_e32 v[6:7], v[34:35], v[4:5]
	s_wait_loadcnt 0x0
	v_mul_f64_e32 v[100:101], v[2:3], v[104:105]
	global_load_b64 v[2:3], v0, s[12:13] scale_offset
	s_wait_loadcnt 0x0
	v_dual_add_f64 v[4:5], v[2:3], -v[18:19] :: v_dual_add_nc_u32 v0, s2, v0
	v_add_f64_e64 v[2:3], v[8:9], -v[2:3]
	v_add_f64_e64 v[8:9], v[106:107], -v[20:21]
	s_delay_alu instid0(VALU_DEP_3) | instskip(NEXT) | instid1(VALU_DEP_2)
	v_mul_f64_e32 v[4:5], 0xbfb5555555555555, v[4:5]
	v_mul_f64_e32 v[8:9], 0xbfb5555555555555, v[8:9]
	s_delay_alu instid0(VALU_DEP_2) | instskip(NEXT) | instid1(VALU_DEP_1)
	v_fmac_f64_e32 v[4:5], 0x3fe5555555555555, v[10:11]
	v_mul_f64_e32 v[40:41], v[100:101], v[4:5]
	v_mul_f64_e32 v[4:5], v[64:65], v[108:109]
	s_delay_alu instid0(VALU_DEP_1)
	v_mul_f64_e32 v[42:43], v[4:5], v[104:105]
	global_load_b64 v[4:5], v0, s[12:13] scale_offset
	s_wait_xcnt 0x0
	v_add_nc_u32_e32 v0, s2, v1
	global_load_b64 v[10:11], v0, s[12:13] scale_offset
	s_wait_loadcnt 0x0
	v_add_f64_e64 v[22:23], v[4:5], -v[10:11]
	v_add_f64_e64 v[4:5], v[16:17], -v[4:5]
	;; [unrolled: 1-line block ×3, first 2 shown]
	s_wait_xcnt 0x0
	s_delay_alu instid0(VALU_DEP_3) | instskip(SKIP_1) | instid1(VALU_DEP_4)
	v_mul_f64_e32 v[0:1], 0xbfb5555555555555, v[22:23]
	v_dual_add_nc_u32 v22, s2, v78 :: v_dual_add_nc_u32 v78, s2, v79
	v_fmac_f64_e32 v[8:9], 0x3fe5555555555555, v[4:5]
	s_clause 0x1
	global_load_b64 v[22:23], v22, s[12:13] scale_offset
	global_load_b64 v[108:109], v78, s[12:13] scale_offset
	s_wait_loadcnt 0x0
	v_add_f64_e64 v[78:79], v[22:23], -v[108:109]
	s_delay_alu instid0(VALU_DEP_1) | instskip(NEXT) | instid1(VALU_DEP_1)
	v_fmac_f64_e32 v[0:1], 0x3fe5555555555555, v[78:79]
	v_mul_f64_e32 v[0:1], v[42:43], v[0:1]
	s_delay_alu instid0(VALU_DEP_1) | instskip(NEXT) | instid1(VALU_DEP_1)
	v_mul_f64_e32 v[0:1], v[12:13], v[0:1]
	v_mul_f64_e32 v[0:1], v[34:35], v[0:1]
	s_delay_alu instid0(VALU_DEP_1) | instskip(NEXT) | instid1(VALU_DEP_1)
	v_fmac_f64_e32 v[0:1], v[34:35], v[40:41]
	v_add_f64_e64 v[0:1], v[6:7], -v[0:1]
	v_add_f64_e64 v[6:7], v[110:111], -v[24:25]
	s_delay_alu instid0(VALU_DEP_2) | instskip(SKIP_2) | instid1(VALU_DEP_1)
	v_fmac_f64_e32 v[90:91], 0x3fe5555555555555, v[0:1]
	scratch_load_b32 v0, off, off offset:224 th:TH_LOAD_LU ; 4-byte Folded Reload
	v_mul_f64_e32 v[6:7], 0xbfb5555555555555, v[6:7]
	v_fmac_f64_e32 v[6:7], 0x3fe5555555555555, v[2:3]
	s_wait_loadcnt 0x0
	v_add_nc_u32_e32 v12, s3, v0
	global_load_b64 v[0:1], v12, s[18:19] scale_offset
	scratch_load_b64 v[40:41], off, off offset:228 th:TH_LOAD_LU ; 8-byte Folded Reload
	v_subrev_nc_u32_e32 v2, s2, v12
	scratch_load_b64 v[4:5], off, off offset:216 th:TH_LOAD_LU ; 8-byte Folded Reload
	global_load_b64 v[2:3], v2, s[18:19] scale_offset
	s_wait_loadcnt 0x2
	v_mul_f64_e32 v[0:1], v[40:41], v[0:1]
	s_wait_loadcnt 0x0
	v_mul_f64_e32 v[2:3], v[40:41], v[2:3]
	v_add3_u32 v40, v56, v33, s1
	s_delay_alu instid0(VALU_DEP_3) | instskip(NEXT) | instid1(VALU_DEP_3)
	v_mul_f64_e32 v[0:1], v[58:59], v[0:1]
	v_mul_f64_e32 v[2:3], v[58:59], v[2:3]
	v_add3_u32 v58, v54, v55, s1
	s_delay_alu instid0(VALU_DEP_2) | instskip(NEXT) | instid1(VALU_DEP_1)
	v_mul_f64_e32 v[2:3], v[8:9], v[2:3]
	v_mul_f64_e32 v[2:3], v[4:5], v[2:3]
	v_add_f64_e64 v[4:5], v[96:97], -v[126:127]
	s_delay_alu instid0(VALU_DEP_2) | instskip(SKIP_3) | instid1(VALU_DEP_1)
	v_fmac_f64_e32 v[2:3], v[6:7], v[0:1]
	scratch_load_b32 v0, off, off offset:212 th:TH_LOAD_LU ; 4-byte Folded Reload
	v_mul_f64_e32 v[4:5], 0xbfb5555555555555, v[4:5]
	v_add_f64_e64 v[6:7], v[30:31], -v[18:19]
	v_fmac_f64_e32 v[4:5], 0x3fe5555555555555, v[6:7]
	s_wait_loadcnt 0x0
	v_add_nc_u32_e32 v8, s3, v0
	global_load_b64 v[0:1], v8, s[18:19] scale_offset
	scratch_load_b64 v[12:13], off, off offset:156 th:TH_LOAD_LU ; 8-byte Folded Reload
	v_subrev_nc_u32_e32 v6, s2, v8
	scratch_load_b64 v[16:17], off, off offset:164 th:TH_LOAD_LU ; 8-byte Folded Reload
	s_wait_xcnt 0x2
	v_add_f64_e64 v[8:9], v[98:99], -v[52:53]
	global_load_b64 v[6:7], v6, s[18:19] scale_offset
	v_mul_f64_e32 v[8:9], 0xbfb5555555555555, v[8:9]
	s_delay_alu instid0(VALU_DEP_1) | instskip(SKIP_4) | instid1(VALU_DEP_2)
	v_fmac_f64_e32 v[8:9], 0x3fe5555555555555, v[10:11]
	s_wait_loadcnt 0x2
	v_mul_f64_e32 v[0:1], v[12:13], v[0:1]
	s_wait_loadcnt 0x0
	v_mul_f64_e32 v[6:7], v[12:13], v[6:7]
	v_mul_f64_e32 v[0:1], v[16:17], v[0:1]
	s_delay_alu instid0(VALU_DEP_2) | instskip(SKIP_3) | instid1(VALU_DEP_1)
	v_mul_f64_e32 v[6:7], v[16:17], v[6:7]
	scratch_load_b128 v[16:19], off, off offset:196 th:TH_LOAD_LU ; 16-byte Folded Reload
	v_mul_f64_e32 v[6:7], v[8:9], v[6:7]
	s_wait_loadcnt 0x0
	v_mul_f64_e32 v[6:7], v[16:17], v[6:7]
	v_add3_u32 v16, v56, v32, s1
	s_delay_alu instid0(VALU_DEP_2) | instskip(NEXT) | instid1(VALU_DEP_1)
	v_fmac_f64_e32 v[6:7], v[4:5], v[0:1]
	v_add_f64_e64 v[0:1], v[2:3], -v[6:7]
	s_delay_alu instid0(VALU_DEP_1)
	v_mul_f64_e32 v[2:3], 0xbfb5555555555555, v[0:1]
	scratch_load_b32 v0, off, off offset:176 th:TH_LOAD_LU ; 4-byte Folded Reload
	s_wait_loadcnt 0x0
	v_add_nc_u32_e32 v8, s3, v0
	global_load_b64 v[0:1], v8, s[18:19] scale_offset
	s_clause 0x1
	scratch_load_b64 v[10:11], off, off offset:180 th:TH_LOAD_LU
	scratch_load_b64 v[12:13], off, off offset:188 th:TH_LOAD_LU
	s_wait_loadcnt 0x1
	v_mul_f64_e32 v[0:1], v[10:11], v[0:1]
	s_wait_loadcnt 0x0
	s_delay_alu instid0(VALU_DEP_1) | instskip(SKIP_1) | instid1(VALU_DEP_1)
	v_mul_f64_e32 v[4:5], v[12:13], v[0:1]
	v_add_f64_e64 v[0:1], v[92:93], -v[124:125]
	v_mul_f64_e32 v[6:7], 0xbfb5555555555555, v[0:1]
	v_add_f64_e64 v[0:1], v[122:123], -v[26:27]
	s_delay_alu instid0(VALU_DEP_1)
	v_fmac_f64_e32 v[6:7], 0x3fe5555555555555, v[0:1]
	v_subrev_nc_u32_e32 v0, s2, v8
	s_wait_xcnt 0x2
	v_add_f64_e64 v[8:9], v[94:95], -v[50:51]
	global_load_b64 v[0:1], v0, s[18:19] scale_offset
	v_mul_f64_e32 v[8:9], 0xbfb5555555555555, v[8:9]
	s_wait_loadcnt 0x0
	v_mul_f64_e32 v[0:1], v[10:11], v[0:1]
	v_add_f64_e64 v[10:11], v[44:45], -v[22:23]
	s_delay_alu instid0(VALU_DEP_2) | instskip(NEXT) | instid1(VALU_DEP_2)
	v_mul_f64_e32 v[0:1], v[12:13], v[0:1]
	v_fmac_f64_e32 v[8:9], 0x3fe5555555555555, v[10:11]
	s_delay_alu instid0(VALU_DEP_1) | instskip(NEXT) | instid1(VALU_DEP_1)
	v_mul_f64_e32 v[0:1], v[8:9], v[0:1]
	v_mul_f64_e32 v[0:1], v[14:15], v[0:1]
	s_delay_alu instid0(VALU_DEP_1) | instskip(SKIP_2) | instid1(VALU_DEP_1)
	v_fmac_f64_e32 v[0:1], v[6:7], v[4:5]
	scratch_load_b32 v4, off, off offset:172 th:TH_LOAD_LU ; 4-byte Folded Reload
	v_add_f64_e64 v[6:7], v[88:89], -v[118:119]
	v_mul_f64_e32 v[8:9], 0xbfb5555555555555, v[6:7]
	v_add_f64_e64 v[6:7], v[114:115], -v[120:121]
	s_delay_alu instid0(VALU_DEP_1)
	v_fmac_f64_e32 v[8:9], 0x3fe5555555555555, v[6:7]
	s_wait_loadcnt 0x0
	v_add_nc_u32_e32 v10, s3, v4
	global_load_b64 v[4:5], v10, s[18:19] scale_offset
	scratch_load_b64 v[12:13], off, off offset:140 th:TH_LOAD_LU ; 8-byte Folded Reload
	v_subrev_nc_u32_e32 v6, s2, v10
	scratch_load_b64 v[14:15], off, off offset:148 th:TH_LOAD_LU ; 8-byte Folded Reload
	s_wait_xcnt 0x2
	v_add_f64_e64 v[10:11], v[86:87], -v[116:117]
	global_load_b64 v[6:7], v6, s[18:19] scale_offset
	v_mul_f64_e32 v[10:11], 0xbfb5555555555555, v[10:11]
	s_wait_loadcnt 0x2
	v_mul_f64_e32 v[4:5], v[12:13], v[4:5]
	s_wait_loadcnt 0x0
	v_mul_f64_e32 v[6:7], v[12:13], v[6:7]
	v_add_f64_e64 v[12:13], v[112:113], -v[108:109]
	s_delay_alu instid0(VALU_DEP_3) | instskip(NEXT) | instid1(VALU_DEP_3)
	v_mul_f64_e32 v[4:5], v[14:15], v[4:5]
	v_mul_f64_e32 v[6:7], v[14:15], v[6:7]
	s_delay_alu instid0(VALU_DEP_3) | instskip(SKIP_1) | instid1(VALU_DEP_2)
	v_fmac_f64_e32 v[10:11], 0x3fe5555555555555, v[12:13]
	v_add3_u32 v12, v54, v32, s1
	v_mul_f64_e32 v[6:7], v[10:11], v[6:7]
	s_delay_alu instid0(VALU_DEP_1) | instskip(SKIP_3) | instid1(VALU_DEP_1)
	v_mul_f64_e32 v[6:7], v[18:19], v[6:7]
	global_load_b64 v[18:19], v12, s[12:13] scale_offset
	scratch_load_b32 v26, off, off offset:132 th:TH_LOAD_LU ; 4-byte Folded Reload
	v_fmac_f64_e32 v[6:7], v[8:9], v[4:5]
	v_add_f64_e64 v[0:1], v[0:1], -v[6:7]
	s_delay_alu instid0(VALU_DEP_1) | instskip(SKIP_2) | instid1(VALU_DEP_3)
	v_fmac_f64_e32 v[2:3], 0x3fe5555555555555, v[0:1]
	v_mul_f64_e32 v[0:1], v[72:73], v[76:77]
	v_add3_u32 v72, v54, v57, s1
	v_fmac_f64_e32 v[90:91], v[34:35], v[2:3]
	s_delay_alu instid0(VALU_DEP_3)
	v_mul_f64_e32 v[2:3], v[0:1], v[82:83]
	s_wait_loadcnt 0x0
	v_add3_u32 v13, v26, v32, s1
	v_add3_u32 v34, v26, v33, s1
	v_mov_b32_e32 v73, v26
	s_clause 0x1
	global_load_b64 v[10:11], v13, s[12:13] scale_offset
	global_load_b64 v[4:5], v16, s[12:13] scale_offset
	scratch_load_b32 v30, off, off offset:136 th:TH_LOAD_LU ; 4-byte Folded Reload
	v_add3_u32 v59, v73, v55, s1
	v_add3_u32 v73, v73, v57, s1
	global_load_b64 v[26:27], v34, s[12:13] scale_offset
	s_wait_loadcnt 0x3
	v_add_f64_e64 v[0:1], v[18:19], -v[10:11]
	s_wait_loadcnt 0x1
	v_add3_u32 v17, v30, v32, s1
	v_add3_u32 v32, v54, v33, s1
	;; [unrolled: 1-line block ×3, first 2 shown]
	s_wait_loadcnt 0x0
	v_add_f64_e64 v[10:11], v[10:11], -v[26:27]
	global_load_b64 v[24:25], v32, s[12:13] scale_offset
	v_mul_f64_e32 v[6:7], 0xbfb5555555555555, v[0:1]
	global_load_b64 v[0:1], v17, s[12:13] scale_offset
	v_mul_f64_e32 v[10:11], 0xbfb5555555555555, v[10:11]
	s_wait_loadcnt 0x1
	v_add_f64_e64 v[18:19], v[18:19], -v[24:25]
	s_wait_loadcnt 0x0
	v_add_f64_e64 v[8:9], v[4:5], -v[0:1]
	s_delay_alu instid0(VALU_DEP_2) | instskip(NEXT) | instid1(VALU_DEP_2)
	v_mul_f64_e32 v[18:19], 0xbfb5555555555555, v[18:19]
	v_fmac_f64_e32 v[6:7], 0x3fe5555555555555, v[8:9]
	s_delay_alu instid0(VALU_DEP_1) | instskip(NEXT) | instid1(VALU_DEP_1)
	v_mul_f64_e32 v[2:3], v[2:3], v[6:7]
	v_mul_f64_e32 v[8:9], v[46:47], v[2:3]
	v_subrev_nc_u32_e32 v2, s0, v12
	global_load_b64 v[20:21], v2, s[12:13] scale_offset
	s_wait_xcnt 0x0
	v_subrev_nc_u32_e32 v2, s0, v13
	global_load_b64 v[14:15], v2, s[12:13] scale_offset
	s_wait_loadcnt 0x0
	v_add_f64_e64 v[2:3], v[20:21], -v[14:15]
	s_delay_alu instid0(VALU_DEP_1)
	v_mul_f64_e32 v[12:13], 0xbfb5555555555555, v[2:3]
	v_subrev_nc_u32_e32 v2, s0, v16
	global_load_b64 v[6:7], v2, s[12:13] scale_offset
	s_wait_xcnt 0x0
	v_subrev_nc_u32_e32 v2, s0, v17
	global_load_b64 v[2:3], v2, s[12:13] scale_offset
	s_wait_loadcnt 0x0
	v_add_f64_e64 v[16:17], v[6:7], -v[2:3]
	s_delay_alu instid0(VALU_DEP_1)
	v_fmac_f64_e32 v[12:13], 0x3fe5555555555555, v[16:17]
	scratch_load_b64 v[16:17], off, off offset:236 th:TH_LOAD_LU ; 8-byte Folded Reload
	s_wait_loadcnt 0x0
	v_mul_f64_e32 v[12:13], v[16:17], v[12:13]
	global_load_b64 v[16:17], v40, s[12:13] scale_offset
	v_mul_f64_e32 v[22:23], v[36:37], v[12:13]
	s_delay_alu instid0(VALU_DEP_1) | instskip(SKIP_3) | instid1(VALU_DEP_3)
	v_fmac_f64_e32 v[22:23], v[36:37], v[8:9]
	v_dual_mul_f64 v[8:9], v[60:61], v[74:75] :: v_dual_mov_b32 v75, v30
	v_add3_u32 v60, v56, v55, s1
	v_add3_u32 v74, v56, v57, s1
	;; [unrolled: 1-line block ×4, first 2 shown]
	global_load_b64 v[44:45], v60, s[12:13] scale_offset
	s_wait_xcnt 0x0
	v_subrev_nc_u32_e32 v60, s0, v60
	global_load_b64 v[50:51], v55, s[12:13] scale_offset
	s_wait_xcnt 0x0
	v_subrev_nc_u32_e32 v55, s0, v55
	s_clause 0x1
	global_load_b64 v[56:57], v75, s[12:13] scale_offset
	global_load_b64 v[60:61], v60, s[12:13] scale_offset
	v_mul_f64_e32 v[12:13], v[8:9], v[84:85]
	v_add_f64_e64 v[8:9], v[24:25], -v[26:27]
	s_delay_alu instid0(VALU_DEP_1) | instskip(SKIP_3) | instid1(VALU_DEP_1)
	v_mul_f64_e32 v[28:29], 0xbfb5555555555555, v[8:9]
	global_load_b64 v[8:9], v42, s[12:13] scale_offset
	s_wait_loadcnt 0x5
	v_add_f64_e64 v[4:5], v[4:5], -v[16:17]
	v_mul_f64_e32 v[4:5], 0xbfb5555555555555, v[4:5]
	s_wait_loadcnt 0x3
	v_add_f64_e64 v[52:53], v[44:45], -v[50:51]
	s_wait_loadcnt 0x0
	v_add_f64_e64 v[30:31], v[16:17], -v[8:9]
	v_add_f64_e64 v[0:1], v[0:1], -v[8:9]
	;; [unrolled: 1-line block ×3, first 2 shown]
	s_delay_alu instid0(VALU_DEP_3) | instskip(NEXT) | instid1(VALU_DEP_3)
	v_fmac_f64_e32 v[28:29], 0x3fe5555555555555, v[30:31]
	v_mul_f64_e32 v[0:1], 0xbfb5555555555555, v[0:1]
	s_delay_alu instid0(VALU_DEP_2) | instskip(NEXT) | instid1(VALU_DEP_2)
	v_mul_f64_e32 v[12:13], v[12:13], v[28:29]
	v_fmac_f64_e32 v[0:1], 0x3fe5555555555555, v[8:9]
	s_delay_alu instid0(VALU_DEP_2)
	v_mul_f64_e32 v[28:29], v[46:47], v[12:13]
	v_subrev_nc_u32_e32 v12, s0, v32
	global_load_b64 v[30:31], v12, s[12:13] scale_offset
	s_wait_xcnt 0x0
	v_subrev_nc_u32_e32 v12, s0, v34
	global_load_b64 v[32:33], v12, s[12:13] scale_offset
	s_wait_loadcnt 0x1
	v_add_f64_e64 v[20:21], v[20:21], -v[30:31]
	s_wait_loadcnt 0x0
	v_add_f64_e64 v[12:13], v[30:31], -v[32:33]
	v_add_f64_e64 v[14:15], v[14:15], -v[32:33]
	s_delay_alu instid0(VALU_DEP_3) | instskip(NEXT) | instid1(VALU_DEP_3)
	v_mul_f64_e32 v[20:21], 0xbfb5555555555555, v[20:21]
	v_mul_f64_e32 v[34:35], 0xbfb5555555555555, v[12:13]
	v_subrev_nc_u32_e32 v12, s0, v40
	s_delay_alu instid0(VALU_DEP_4)
	v_mul_f64_e32 v[14:15], 0xbfb5555555555555, v[14:15]
	global_load_b64 v[40:41], v12, s[12:13] scale_offset
	s_wait_xcnt 0x0
	v_subrev_nc_u32_e32 v12, s0, v42
	global_load_b64 v[12:13], v12, s[12:13] scale_offset
	s_wait_loadcnt 0x1
	v_add_f64_e64 v[6:7], v[6:7], -v[40:41]
	s_wait_loadcnt 0x0
	v_add_f64_e64 v[42:43], v[40:41], -v[12:13]
	v_add_f64_e64 v[2:3], v[2:3], -v[12:13]
	s_delay_alu instid0(VALU_DEP_3) | instskip(NEXT) | instid1(VALU_DEP_3)
	v_mul_f64_e32 v[6:7], 0xbfb5555555555555, v[6:7]
	v_fmac_f64_e32 v[34:35], 0x3fe5555555555555, v[42:43]
	s_delay_alu instid0(VALU_DEP_3) | instskip(NEXT) | instid1(VALU_DEP_2)
	v_mul_f64_e32 v[2:3], 0xbfb5555555555555, v[2:3]
	v_mul_f64_e32 v[34:35], v[80:81], v[34:35]
	s_delay_alu instid0(VALU_DEP_1) | instskip(NEXT) | instid1(VALU_DEP_1)
	v_mul_f64_e32 v[34:35], v[36:37], v[34:35]
	v_fmac_f64_e32 v[34:35], v[36:37], v[28:29]
	global_load_b64 v[28:29], v58, s[12:13] scale_offset
	v_add_f64_e64 v[22:23], v[22:23], -v[34:35]
	global_load_b64 v[34:35], v59, s[12:13] scale_offset
	v_fmac_f64_e32 v[90:91], 0xbfb5555555555555, v[22:23]
	v_mul_f64_e32 v[22:23], v[66:67], v[70:71]
	s_clause 0x1
	global_load_b64 v[66:67], v55, s[12:13] scale_offset
	global_load_b64 v[54:55], v72, s[12:13] scale_offset
	v_mul_f64_e32 v[22:23], v[22:23], v[102:103]
	s_wait_loadcnt 0x2
	v_add_f64_e64 v[42:43], v[28:29], -v[34:35]
	s_delay_alu instid0(VALU_DEP_1) | instskip(SKIP_2) | instid1(VALU_DEP_2)
	v_mul_f64_e32 v[42:43], 0xbfb5555555555555, v[42:43]
	s_wait_loadcnt 0x1
	v_add_f64_e64 v[70:71], v[60:61], -v[66:67]
	v_fmac_f64_e32 v[42:43], 0x3fe5555555555555, v[52:53]
	v_subrev_nc_u32_e32 v52, s0, v59
	global_load_b64 v[52:53], v52, s[12:13] scale_offset
	v_mul_f64_e32 v[22:23], v[22:23], v[42:43]
	v_subrev_nc_u32_e32 v42, s0, v58
	global_load_b64 v[42:43], v42, s[12:13] scale_offset
	v_mul_f64_e32 v[22:23], v[46:47], v[22:23]
	s_wait_loadcnt 0x0
	v_add_f64_e64 v[58:59], v[42:43], -v[52:53]
	s_delay_alu instid0(VALU_DEP_1) | instskip(NEXT) | instid1(VALU_DEP_1)
	v_mul_f64_e32 v[58:59], 0xbfb5555555555555, v[58:59]
	v_fmac_f64_e32 v[58:59], 0x3fe5555555555555, v[70:71]
	s_delay_alu instid0(VALU_DEP_1) | instskip(SKIP_2) | instid1(VALU_DEP_1)
	v_mul_f64_e32 v[58:59], v[62:63], v[58:59]
	global_load_b64 v[62:63], v73, s[12:13] scale_offset
	v_mul_f64_e32 v[58:59], v[36:37], v[58:59]
	v_fmac_f64_e32 v[58:59], v[36:37], v[22:23]
	v_mul_f64_e32 v[22:23], v[64:65], v[68:69]
	global_load_b64 v[68:69], v74, s[12:13] scale_offset
	v_add_f64_e64 v[24:25], v[28:29], -v[54:55]
	v_mul_f64_e32 v[22:23], v[22:23], v[104:105]
	s_delay_alu instid0(VALU_DEP_2) | instskip(SKIP_2) | instid1(VALU_DEP_1)
	v_fmac_f64_e32 v[18:19], 0x3fe5555555555555, v[24:25]
	s_wait_loadcnt 0x1
	v_add_f64_e64 v[64:65], v[54:55], -v[62:63]
	v_mul_f64_e32 v[64:65], 0xbfb5555555555555, v[64:65]
	s_wait_loadcnt 0x0
	v_add_f64_e64 v[70:71], v[68:69], -v[56:57]
	v_add_f64_e64 v[16:17], v[44:45], -v[68:69]
	s_delay_alu instid0(VALU_DEP_2) | instskip(NEXT) | instid1(VALU_DEP_2)
	v_fmac_f64_e32 v[64:65], 0x3fe5555555555555, v[70:71]
	v_fmac_f64_e32 v[4:5], 0x3fe5555555555555, v[16:17]
	s_delay_alu instid0(VALU_DEP_2)
	v_mul_f64_e32 v[22:23], v[22:23], v[64:65]
	v_subrev_nc_u32_e32 v64, s0, v73
	global_load_b64 v[64:65], v64, s[12:13] scale_offset
	v_mul_f64_e32 v[22:23], v[46:47], v[22:23]
	v_subrev_nc_u32_e32 v46, s0, v72
	s_wait_xcnt 0x5
	v_subrev_nc_u32_e32 v72, s0, v74
	s_wait_xcnt 0x1
	v_subrev_nc_u32_e32 v74, s0, v75
	s_clause 0x2
	global_load_b64 v[46:47], v46, s[12:13] scale_offset
	global_load_b64 v[72:73], v72, s[12:13] scale_offset
	;; [unrolled: 1-line block ×3, first 2 shown]
	s_wait_loadcnt 0x2
	v_add_f64_e64 v[70:71], v[46:47], -v[64:65]
	v_add_f64_e64 v[24:25], v[42:43], -v[46:47]
	s_wait_loadcnt 0x0
	v_add_f64_e64 v[76:77], v[72:73], -v[74:75]
	v_add_f64_e64 v[16:17], v[60:61], -v[72:73]
	;; [unrolled: 1-line block ×3, first 2 shown]
	v_mul_f64_e32 v[70:71], 0xbfb5555555555555, v[70:71]
	v_fmac_f64_e32 v[20:21], 0x3fe5555555555555, v[24:25]
	s_delay_alu instid0(VALU_DEP_4) | instskip(NEXT) | instid1(VALU_DEP_4)
	v_fmac_f64_e32 v[6:7], 0x3fe5555555555555, v[16:17]
	v_fmac_f64_e32 v[2:3], 0x3fe5555555555555, v[8:9]
	s_delay_alu instid0(VALU_DEP_4) | instskip(NEXT) | instid1(VALU_DEP_1)
	v_fmac_f64_e32 v[70:71], 0x3fe5555555555555, v[76:77]
	v_mul_f64_e32 v[70:71], v[100:101], v[70:71]
	s_delay_alu instid0(VALU_DEP_1) | instskip(NEXT) | instid1(VALU_DEP_1)
	v_mul_f64_e32 v[70:71], v[36:37], v[70:71]
	v_fmac_f64_e32 v[70:71], v[36:37], v[22:23]
	s_delay_alu instid0(VALU_DEP_1) | instskip(NEXT) | instid1(VALU_DEP_1)
	v_add_f64_e64 v[22:23], v[58:59], -v[70:71]
	v_fmac_f64_e32 v[90:91], 0x3fe5555555555555, v[22:23]
	scratch_load_b32 v22, off, off offset:128 th:TH_LOAD_LU ; 4-byte Folded Reload
	s_wait_loadcnt 0x0
	global_load_b64 v[22:23], v22, s[18:19] scale_offset
	s_clause 0x1
	scratch_load_b64 v[58:59], off, off offset:112 th:TH_LOAD_LU
	scratch_load_b64 v[70:71], off, off offset:120 th:TH_LOAD_LU
	s_wait_loadcnt 0x1
	s_wait_xcnt 0x2
	v_mul_f64_e32 v[22:23], v[58:59], v[22:23]
	s_wait_loadcnt 0x0
	s_delay_alu instid0(VALU_DEP_1) | instskip(NEXT) | instid1(VALU_DEP_1)
	v_mul_f64_e32 v[22:23], v[70:71], v[22:23]
	v_mul_f64_e32 v[18:19], v[18:19], v[22:23]
	scratch_load_b32 v22, off, off offset:96 th:TH_LOAD_LU ; 4-byte Folded Reload
	s_wait_loadcnt 0x0
	v_add_nc_u32_e32 v22, s3, v22
	global_load_b64 v[22:23], v22, s[18:19] scale_offset
	s_wait_loadcnt 0x0
	v_mul_f64_e32 v[22:23], v[58:59], v[22:23]
	s_delay_alu instid0(VALU_DEP_1) | instskip(NEXT) | instid1(VALU_DEP_1)
	v_mul_f64_e32 v[22:23], v[70:71], v[22:23]
	v_mul_f64_e32 v[20:21], v[20:21], v[22:23]
	scratch_load_b64 v[22:23], off, off offset:100 th:TH_LOAD_LU ; 8-byte Folded Reload
	s_wait_loadcnt 0x0
	v_fmac_f64_e32 v[20:21], v[22:23], v[18:19]
	scratch_load_b32 v18, off, off offset:108 th:TH_LOAD_LU ; 4-byte Folded Reload
	v_add_f64_e64 v[22:23], v[34:35], -v[62:63]
	s_wait_loadcnt 0x0
	global_load_b64 v[18:19], v18, s[18:19] scale_offset
	s_clause 0x1
	scratch_load_b64 v[24:25], off, off offset:36 th:TH_LOAD_LU
	scratch_load_b64 v[28:29], off, off offset:52 th:TH_LOAD_LU
	v_fmac_f64_e32 v[10:11], 0x3fe5555555555555, v[22:23]
	v_add_f64_e64 v[22:23], v[52:53], -v[64:65]
	s_delay_alu instid0(VALU_DEP_1) | instskip(SKIP_4) | instid1(VALU_DEP_1)
	v_fmac_f64_e32 v[14:15], 0x3fe5555555555555, v[22:23]
	s_wait_loadcnt 0x1
	s_wait_xcnt 0x2
	v_mul_f64_e32 v[18:19], v[24:25], v[18:19]
	s_wait_loadcnt 0x0
	v_mul_f64_e32 v[18:19], v[28:29], v[18:19]
	s_delay_alu instid0(VALU_DEP_1)
	v_mul_f64_e32 v[10:11], v[10:11], v[18:19]
	scratch_load_b32 v18, off, off offset:92 th:TH_LOAD_LU ; 4-byte Folded Reload
	s_wait_loadcnt 0x0
	v_add_nc_u32_e32 v18, s3, v18
	global_load_b64 v[18:19], v18, s[18:19] scale_offset
	s_wait_loadcnt 0x0
	v_mul_f64_e32 v[18:19], v[24:25], v[18:19]
	scratch_load_b128 v[22:25], off, off offset:72 th:TH_LOAD_LU ; 16-byte Folded Reload
	v_mul_f64_e32 v[18:19], v[28:29], v[18:19]
	s_delay_alu instid0(VALU_DEP_1) | instskip(SKIP_1) | instid1(VALU_DEP_1)
	v_mul_f64_e32 v[14:15], v[14:15], v[18:19]
	s_wait_loadcnt 0x0
	v_fmac_f64_e32 v[14:15], v[22:23], v[10:11]
	s_delay_alu instid0(VALU_DEP_1)
	v_add_f64_e64 v[10:11], v[20:21], -v[14:15]
	scratch_load_b32 v14, off, off offset:88 th:TH_LOAD_LU ; 4-byte Folded Reload
	s_wait_loadcnt 0x0
	global_load_b64 v[14:15], v14, s[18:19] scale_offset
	s_clause 0x1
	scratch_load_b64 v[18:19], off, off offset:44 th:TH_LOAD_LU
	scratch_load_b64 v[20:21], off, off offset:60 th:TH_LOAD_LU
	v_mul_f64_e32 v[10:11], 0xbfb5555555555555, v[10:11]
	s_wait_loadcnt 0x1
	s_wait_xcnt 0x2
	v_mul_f64_e32 v[14:15], v[18:19], v[14:15]
	s_wait_loadcnt 0x0
	s_delay_alu instid0(VALU_DEP_1) | instskip(NEXT) | instid1(VALU_DEP_1)
	v_mul_f64_e32 v[14:15], v[20:21], v[14:15]
	v_mul_f64_e32 v[4:5], v[4:5], v[14:15]
	scratch_load_b32 v14, off, off offset:32 th:TH_LOAD_LU ; 4-byte Folded Reload
	s_wait_loadcnt 0x0
	v_add_nc_u32_e32 v14, s3, v14
	global_load_b64 v[14:15], v14, s[18:19] scale_offset
	s_wait_loadcnt 0x0
	v_mul_f64_e32 v[14:15], v[18:19], v[14:15]
	s_delay_alu instid0(VALU_DEP_1) | instskip(NEXT) | instid1(VALU_DEP_1)
	v_mul_f64_e32 v[14:15], v[20:21], v[14:15]
	v_mul_f64_e32 v[6:7], v[6:7], v[14:15]
	s_delay_alu instid0(VALU_DEP_1)
	v_fmac_f64_e32 v[6:7], v[48:49], v[4:5]
	scratch_load_b32 v4, off, off offset:68 th:TH_LOAD_LU ; 4-byte Folded Reload
	s_wait_loadcnt 0x0
	global_load_b64 v[4:5], v4, s[18:19] scale_offset
	s_clause 0x1
	scratch_load_b64 v[16:17], off, off offset:24 th:TH_LOAD_LU
	scratch_load_b64 v[14:15], off, off offset:16 th:TH_LOAD_LU
	s_wait_loadcnt 0x1
	s_wait_xcnt 0x2
	v_mul_f64_e32 v[4:5], v[16:17], v[4:5]
	s_wait_loadcnt 0x0
	s_delay_alu instid0(VALU_DEP_1) | instskip(NEXT) | instid1(VALU_DEP_1)
	v_mul_f64_e32 v[4:5], v[14:15], v[4:5]
	v_mul_f64_e32 v[0:1], v[0:1], v[4:5]
	scratch_load_b32 v4, off, off offset:12 th:TH_LOAD_LU ; 4-byte Folded Reload
	s_wait_loadcnt 0x0
	v_add_nc_u32_e32 v4, s3, v4
	global_load_b64 v[4:5], v4, s[18:19] scale_offset
	s_wait_loadcnt 0x0
	v_mul_f64_e32 v[4:5], v[16:17], v[4:5]
	s_delay_alu instid0(VALU_DEP_1) | instskip(NEXT) | instid1(VALU_DEP_1)
	v_mul_f64_e32 v[4:5], v[14:15], v[4:5]
	v_mul_f64_e32 v[2:3], v[2:3], v[4:5]
	scratch_load_b64 v[4:5], off, off th:TH_LOAD_LU ; 8-byte Folded Reload
	v_fmac_f64_e32 v[2:3], v[24:25], v[0:1]
	s_delay_alu instid0(VALU_DEP_1) | instskip(SKIP_2) | instid1(VALU_DEP_1)
	v_add_f64_e64 v[0:1], v[6:7], -v[2:3]
	scratch_load_b32 v6, off, off offset:8 th:TH_LOAD_LU ; 4-byte Folded Reload
	v_fmac_f64_e32 v[10:11], 0x3fe5555555555555, v[0:1]
	v_fmac_f64_e32 v[90:91], v[36:37], v[10:11]
	s_delay_alu instid0(VALU_DEP_1) | instskip(NEXT) | instid1(VALU_DEP_1)
	v_add_f64_e32 v[0:1], v[38:39], v[90:91]
	v_mul_f64_e32 v[0:1], s[10:11], v[0:1]
	s_wait_loadcnt 0x1
	s_delay_alu instid0(VALU_DEP_1)
	v_mul_f64_e32 v[0:1], v[4:5], v[0:1]
	s_wait_loadcnt 0x0
	global_load_b64 v[2:3], v6, s[26:27] scale_offset
	s_wait_loadcnt 0x0
	v_fmac_f64_e32 v[0:1], s[8:9], v[2:3]
	global_store_b64 v6, v[0:1], s[26:27] scale_offset
.LBB3_2:
	s_sendmsg sendmsg(MSG_DEALLOC_VGPRS)
	s_endpgm
	.section	.rodata,"a",@progbits
	.p2align	6, 0x0
	.amdhsa_kernel _Z7kernel4iiiiiiiiiiiiddPKdS0_S0_S0_S0_PdS0_S0_S0_S0_S0_S0_S0_
		.amdhsa_group_segment_fixed_size 0
		.amdhsa_private_segment_fixed_size 248
		.amdhsa_kernarg_size 424
		.amdhsa_user_sgpr_count 2
		.amdhsa_user_sgpr_dispatch_ptr 0
		.amdhsa_user_sgpr_queue_ptr 0
		.amdhsa_user_sgpr_kernarg_segment_ptr 1
		.amdhsa_user_sgpr_dispatch_id 0
		.amdhsa_user_sgpr_kernarg_preload_length 0
		.amdhsa_user_sgpr_kernarg_preload_offset 0
		.amdhsa_user_sgpr_private_segment_size 0
		.amdhsa_wavefront_size32 1
		.amdhsa_uses_dynamic_stack 0
		.amdhsa_enable_private_segment 1
		.amdhsa_system_sgpr_workgroup_id_x 1
		.amdhsa_system_sgpr_workgroup_id_y 1
		.amdhsa_system_sgpr_workgroup_id_z 1
		.amdhsa_system_sgpr_workgroup_info 0
		.amdhsa_system_vgpr_workitem_id 2
		.amdhsa_next_free_vgpr 128
		.amdhsa_next_free_sgpr 32
		.amdhsa_named_barrier_count 0
		.amdhsa_reserve_vcc 1
		.amdhsa_float_round_mode_32 0
		.amdhsa_float_round_mode_16_64 0
		.amdhsa_float_denorm_mode_32 3
		.amdhsa_float_denorm_mode_16_64 3
		.amdhsa_fp16_overflow 0
		.amdhsa_memory_ordered 1
		.amdhsa_forward_progress 1
		.amdhsa_inst_pref_size 70
		.amdhsa_round_robin_scheduling 0
		.amdhsa_exception_fp_ieee_invalid_op 0
		.amdhsa_exception_fp_denorm_src 0
		.amdhsa_exception_fp_ieee_div_zero 0
		.amdhsa_exception_fp_ieee_overflow 0
		.amdhsa_exception_fp_ieee_underflow 0
		.amdhsa_exception_fp_ieee_inexact 0
		.amdhsa_exception_int_div_zero 0
	.end_amdhsa_kernel
	.text
.Lfunc_end3:
	.size	_Z7kernel4iiiiiiiiiiiiddPKdS0_S0_S0_S0_PdS0_S0_S0_S0_S0_S0_S0_, .Lfunc_end3-_Z7kernel4iiiiiiiiiiiiddPKdS0_S0_S0_S0_PdS0_S0_S0_S0_S0_S0_S0_
                                        ; -- End function
	.set _Z7kernel4iiiiiiiiiiiiddPKdS0_S0_S0_S0_PdS0_S0_S0_S0_S0_S0_S0_.num_vgpr, 128
	.set _Z7kernel4iiiiiiiiiiiiddPKdS0_S0_S0_S0_PdS0_S0_S0_S0_S0_S0_S0_.num_agpr, 0
	.set _Z7kernel4iiiiiiiiiiiiddPKdS0_S0_S0_S0_PdS0_S0_S0_S0_S0_S0_S0_.numbered_sgpr, 32
	.set _Z7kernel4iiiiiiiiiiiiddPKdS0_S0_S0_S0_PdS0_S0_S0_S0_S0_S0_S0_.num_named_barrier, 0
	.set _Z7kernel4iiiiiiiiiiiiddPKdS0_S0_S0_S0_PdS0_S0_S0_S0_S0_S0_S0_.private_seg_size, 248
	.set _Z7kernel4iiiiiiiiiiiiddPKdS0_S0_S0_S0_PdS0_S0_S0_S0_S0_S0_S0_.uses_vcc, 1
	.set _Z7kernel4iiiiiiiiiiiiddPKdS0_S0_S0_S0_PdS0_S0_S0_S0_S0_S0_S0_.uses_flat_scratch, 1
	.set _Z7kernel4iiiiiiiiiiiiddPKdS0_S0_S0_S0_PdS0_S0_S0_S0_S0_S0_S0_.has_dyn_sized_stack, 0
	.set _Z7kernel4iiiiiiiiiiiiddPKdS0_S0_S0_S0_PdS0_S0_S0_S0_S0_S0_S0_.has_recursion, 0
	.set _Z7kernel4iiiiiiiiiiiiddPKdS0_S0_S0_S0_PdS0_S0_S0_S0_S0_S0_S0_.has_indirect_call, 0
	.section	.AMDGPU.csdata,"",@progbits
; Kernel info:
; codeLenInByte = 8960
; TotalNumSgprs: 34
; NumVgprs: 128
; ScratchSize: 248
; MemoryBound: 0
; FloatMode: 240
; IeeeMode: 1
; LDSByteSize: 0 bytes/workgroup (compile time only)
; SGPRBlocks: 0
; VGPRBlocks: 7
; NumSGPRsForWavesPerEU: 34
; NumVGPRsForWavesPerEU: 128
; NamedBarCnt: 0
; Occupancy: 8
; WaveLimiterHint : 0
; COMPUTE_PGM_RSRC2:SCRATCH_EN: 1
; COMPUTE_PGM_RSRC2:USER_SGPR: 2
; COMPUTE_PGM_RSRC2:TRAP_HANDLER: 0
; COMPUTE_PGM_RSRC2:TGID_X_EN: 1
; COMPUTE_PGM_RSRC2:TGID_Y_EN: 1
; COMPUTE_PGM_RSRC2:TGID_Z_EN: 1
; COMPUTE_PGM_RSRC2:TIDIG_COMP_CNT: 2
	.text
	.protected	_Z7kernel5iiiiiiiiiiiiiddPKdS0_S0_S0_S0_PdS0_S0_S0_S0_S0_S0_S0_ ; -- Begin function _Z7kernel5iiiiiiiiiiiiiddPKdS0_S0_S0_S0_PdS0_S0_S0_S0_S0_S0_S0_
	.globl	_Z7kernel5iiiiiiiiiiiiiddPKdS0_S0_S0_S0_PdS0_S0_S0_S0_S0_S0_S0_
	.p2align	8
	.type	_Z7kernel5iiiiiiiiiiiiiddPKdS0_S0_S0_S0_PdS0_S0_S0_S0_S0_S0_S0_,@function
_Z7kernel5iiiiiiiiiiiiiddPKdS0_S0_S0_S0_PdS0_S0_S0_S0_S0_S0_S0_: ; @_Z7kernel5iiiiiiiiiiiiiddPKdS0_S0_S0_S0_PdS0_S0_S0_S0_S0_S0_S0_
; %bb.0:
	s_clause 0x1
	s_load_b64 s[2:3], s[0:1], 0xbc
	s_load_b256 s[12:19], s[0:1], 0x0
	s_bfe_u32 s8, ttmp6, 0x40010
	s_bfe_u32 s5, ttmp6, 0x40014
	s_and_b32 s7, ttmp7, 0xffff
	s_bfe_u32 s11, ttmp6, 0x4000c
	s_add_co_i32 s8, s8, 1
	s_lshr_b32 s4, ttmp7, 16
	s_bfe_u32 s9, ttmp6, 0x40004
	s_add_co_i32 s5, s5, 1
	s_add_co_i32 s11, s11, 1
	s_mul_i32 s8, s7, s8
	v_and_b32_e32 v54, 0x3ff, v0
	v_bfe_u32 v1, v0, 10, 10
	s_bfe_u32 s6, ttmp6, 0x40008
	s_and_b32 s10, ttmp6, 15
	s_mul_i32 s5, s4, s5
	s_add_co_i32 s9, s9, s8
	s_mul_i32 s8, ttmp9, s11
	s_getreg_b32 s11, hwreg(HW_REG_IB_STS2, 6, 4)
	s_add_co_i32 s6, s6, s5
	s_wait_kmcnt 0x0
	s_and_b32 s3, s3, 0xffff
	s_lshr_b32 s5, s2, 16
	s_and_b32 s2, s2, 0xffff
	s_add_co_i32 s10, s10, s8
	s_cmp_eq_u32 s11, 0
	v_dual_add_nc_u32 v12, s12, v54 :: v_dual_add_nc_u32 v45, s14, v1
	s_cselect_b32 s33, ttmp9, s10
	s_cselect_b32 s41, s7, s9
	v_bfe_u32 v0, v0, 20, 10
	s_mul_i32 s33, s33, s2
	s_mul_i32 s41, s41, s5
	s_cselect_b32 s2, s4, s6
	v_dual_add_nc_u32 v10, s33, v12 :: v_dual_add_nc_u32 v13, s41, v45
	s_mul_i32 s2, s2, s3
	s_delay_alu instid0(SALU_CYCLE_1) | instskip(NEXT) | instid1(VALU_DEP_2)
	v_add3_u32 v44, s2, s16, v0
	v_cmp_gt_i32_e32 vcc_lo, s13, v10
	s_delay_alu instid0(VALU_DEP_3) | instskip(NEXT) | instid1(VALU_DEP_3)
	v_cmp_gt_i32_e64 s2, s15, v13
	v_cmp_gt_i32_e64 s3, s17, v44
	s_and_b32 s2, vcc_lo, s2
	s_delay_alu instid0(SALU_CYCLE_1) | instskip(NEXT) | instid1(SALU_CYCLE_1)
	s_and_b32 s2, s2, s3
	s_and_saveexec_b32 s3, s2
	s_cbranch_execz .LBB4_13
; %bb.1:
	s_clause 0x5
	s_load_b256 s[20:27], s[0:1], 0x90
	s_load_b64 s[2:3], s[0:1], 0x80
	s_load_b128 s[28:31], s[0:1], 0x68
	s_load_b256 s[4:11], s[0:1], 0x48
	s_load_b128 s[36:39], s[0:1], 0x20
	s_load_b32 s34, s[0:1], 0x30
	s_sub_co_i32 s40, s19, s18
	v_subrev_nc_u32_e32 v4, s18, v10
	s_not_b32 s13, s40
	s_add_co_i32 s40, s40, 1
	v_add_nc_u32_e32 v55, -2, v10
	v_mul_lo_u32 v20, v13, s40
	v_dual_ashrrev_i32 v11, 31, v10 :: v_dual_add_nc_u32 v58, 1, v10
	s_delay_alu instid0(VALU_DEP_2)
	v_dual_add_nc_u32 v59, 2, v10 :: v_dual_ashrrev_i32 v21, 31, v20
	s_wait_kmcnt 0x0
	v_subrev_nc_u32_e32 v8, s36, v13
	s_mul_i32 s13, s36, s13
	s_sub_co_i32 s36, s37, s36
	s_add_co_i32 s37, s34, s39
	s_add_co_i32 s36, s36, 1
	v_ashrrev_i32_e32 v9, 31, v8
	s_mul_i32 s35, s36, s40
	s_lshl_b32 s42, s38, 1
	s_mul_i32 s14, s35, s38
	s_sub_co_i32 s37, s37, s42
	s_add_co_i32 s14, s18, s14
	v_lshl_add_u64 v[14:15], v[8:9], 3, s[26:27]
	s_sub_co_i32 s15, s13, s14
	v_ashrrev_i32_e32 v5, 31, v4
	s_sub_co_i32 s14, s39, s38
	s_add_co_i32 s37, s37, -6
	s_add_co_i32 s14, s14, 1
	s_mul_i32 s37, s37, s36
	v_lshl_add_u64 v[6:7], v[4:5], 3, s[24:25]
	s_clause 0x2
	global_load_b128 v[0:3], v[6:7], off
	global_load_b128 v[76:79], v[6:7], off offset:-16
	global_load_b64 v[48:49], v4, s[24:25] offset:16 scale_offset
	s_clause 0x2
	global_load_b128 v[4:7], v[14:15], off
	global_load_b128 v[72:75], v[14:15], off offset:-16
	global_load_b64 v[60:61], v8, s[26:27] offset:16 scale_offset
	s_wait_xcnt 0x0
	v_mul_lo_u32 v8, v44, s35
	v_add_nc_u32_e32 v14, s15, v10
	s_mul_i32 s14, s14, s35
	s_mul_i32 s42, s38, 3
	s_sub_co_i32 s16, s15, s14
	s_lshl_b32 s24, s14, 1
	v_add_nc_u32_e32 v31, v20, v14
	s_ashr_i32 s17, s16, 31
	s_ashr_i32 s25, s24, 31
	s_mul_i32 s26, s14, 3
	s_delay_alu instid0(VALU_DEP_1)
	v_add_nc_u32_e32 v28, v31, v8
	v_add3_u32 v15, v8, v20, s15
	s_ashr_i32 s15, s14, 31
	s_ashr_i32 s27, s26, 31
	global_load_b64 v[16:17], v28, s[28:29] scale_offset
	v_add_nc_u32_e32 v9, v15, v55
	s_wait_xcnt 0x0
	s_add_co_i32 s28, s34, -8
	s_sub_co_i32 s29, 0, s18
	s_wait_loadcnt 0x0
	scratch_store_b64 off, v[16:17], off offset:168 ; 8-byte Folded Spill
	s_wait_xcnt 0x0
	v_div_scale_f64 v[16:17], null, v[4:5], v[4:5], 1.0
	s_delay_alu instid0(VALU_DEP_1) | instskip(SKIP_1) | instid1(TRANS32_DEP_1)
	v_rcp_f64_e32 v[18:19], v[16:17]
	v_nop
	v_fma_f64 v[22:23], -v[16:17], v[18:19], 1.0
	s_delay_alu instid0(VALU_DEP_1) | instskip(NEXT) | instid1(VALU_DEP_1)
	v_fmac_f64_e32 v[18:19], v[18:19], v[22:23]
	v_fma_f64 v[22:23], -v[16:17], v[18:19], 1.0
	s_delay_alu instid0(VALU_DEP_1) | instskip(SKIP_1) | instid1(VALU_DEP_1)
	v_fmac_f64_e32 v[18:19], v[18:19], v[22:23]
	v_div_scale_f64 v[22:23], vcc_lo, 1.0, v[4:5], 1.0
	v_mul_f64_e32 v[24:25], v[22:23], v[18:19]
	s_delay_alu instid0(VALU_DEP_1) | instskip(NEXT) | instid1(VALU_DEP_1)
	v_fma_f64 v[16:17], -v[16:17], v[24:25], v[22:23]
	v_div_fmas_f64 v[16:17], v[16:17], v[18:19], v[24:25]
	s_delay_alu instid0(VALU_DEP_1) | instskip(SKIP_1) | instid1(VALU_DEP_1)
	v_div_fixup_f64 v[50:51], v[16:17], v[4:5], 1.0
	v_div_scale_f64 v[16:17], null, v[0:1], v[0:1], 1.0
	v_rcp_f64_e32 v[18:19], v[16:17]
	v_nop
	s_delay_alu instid0(TRANS32_DEP_1) | instskip(NEXT) | instid1(VALU_DEP_1)
	v_fma_f64 v[22:23], -v[16:17], v[18:19], 1.0
	v_fmac_f64_e32 v[18:19], v[18:19], v[22:23]
	s_delay_alu instid0(VALU_DEP_1) | instskip(NEXT) | instid1(VALU_DEP_1)
	v_fma_f64 v[22:23], -v[16:17], v[18:19], 1.0
	v_fmac_f64_e32 v[18:19], v[18:19], v[22:23]
	v_div_scale_f64 v[22:23], vcc_lo, 1.0, v[0:1], 1.0
	s_delay_alu instid0(VALU_DEP_1) | instskip(NEXT) | instid1(VALU_DEP_1)
	v_mul_f64_e32 v[24:25], v[22:23], v[18:19]
	v_fma_f64 v[16:17], -v[16:17], v[24:25], v[22:23]
	s_delay_alu instid0(VALU_DEP_1) | instskip(NEXT) | instid1(VALU_DEP_1)
	v_div_fmas_f64 v[16:17], v[16:17], v[18:19], v[24:25]
	v_div_fixup_f64 v[52:53], v[16:17], v[0:1], 1.0
	s_clause 0x1
	global_load_b64 v[84:85], v9, s[6:7] scale_offset
	global_load_b64 v[16:17], v9, s[8:9] scale_offset
	s_wait_xcnt 0x0
	v_dual_mul_f64 v[80:81], v[52:53], v[50:51] :: v_dual_ashrrev_i32 v9, 31, v8
	s_wait_loadcnt 0x0
	v_fma_f64 v[18:19], 2.0, v[84:85], v[16:17]
	scratch_store_b64 off, v[16:17], off offset:680 ; 8-byte Folded Spill
	s_wait_xcnt 0x0
	v_add_nc_u64_e32 v[16:17], s[16:17], v[10:11]
	v_add_nc_u32_e32 v11, v15, v58
	s_add_co_i32 s17, s34, -7
	s_delay_alu instid0(VALU_DEP_2) | instskip(NEXT) | instid1(VALU_DEP_1)
	v_add_nc_u64_e32 v[16:17], v[16:17], v[20:21]
	v_add_nc_u64_e32 v[16:17], v[16:17], v[8:9]
	s_delay_alu instid0(VALU_DEP_1) | instskip(NEXT) | instid1(VALU_DEP_1)
	v_add_nc_u64_e32 v[16:17], s[14:15], v[16:17]
	v_lshl_add_u64 v[16:17], v[16:17], 3, s[10:11]
	global_load_b128 v[94:97], v[16:17], off offset:-16
	v_add_nc_u32_e32 v56, -1, v10
	s_delay_alu instid0(VALU_DEP_1)
	v_add_nc_u32_e32 v9, v15, v56
	s_clause 0x1
	global_load_b64 v[82:83], v9, s[6:7] scale_offset
	global_load_b64 v[106:107], v9, s[8:9] scale_offset
	s_wait_xcnt 0x0
	v_dual_add_nc_u32 v9, s16, v10 :: v_dual_add_nc_u32 v10, v15, v59
	s_wait_loadcnt 0x2
	s_delay_alu instid0(VALU_DEP_1) | instskip(NEXT) | instid1(VALU_DEP_1)
	v_dual_mul_f64 v[16:17], v[18:19], v[94:95] :: v_dual_add_nc_u32 v30, v20, v9
	v_mul_f64_e32 v[24:25], v[94:95], v[16:17]
	s_wait_loadcnt 0x0
	v_fma_f64 v[16:17], 2.0, v[82:83], v[106:107]
	scratch_store_b64 off, v[16:17], off offset:304 ; 8-byte Folded Spill
	s_clause 0x1
	global_load_b64 v[32:33], v28, s[6:7] scale_offset
	global_load_b64 v[36:37], v28, s[8:9] scale_offset
	s_wait_xcnt 0x2
	v_mul_f64_e32 v[16:17], v[16:17], v[96:97]
	s_wait_xcnt 0x0
	v_add_nc_u32_e32 v28, v30, v8
	s_delay_alu instid0(VALU_DEP_1) | instskip(NEXT) | instid1(VALU_DEP_3)
	v_dual_add_nc_u32 v20, s14, v28 :: v_dual_ashrrev_i32 v29, 31, v28
	v_mul_f64_e32 v[26:27], v[96:97], v[16:17]
	s_delay_alu instid0(VALU_DEP_1) | instskip(SKIP_3) | instid1(VALU_DEP_1)
	v_mul_f64_e32 v[34:35], v[78:79], v[26:27]
	s_wait_loadcnt 0x0
	v_fmac_f64_e32 v[36:37], 2.0, v[32:33]
	v_ashrrev_i32_e32 v21, 31, v20
	v_lshlrev_b64_e32 v[16:17], 3, v[20:21]
	s_delay_alu instid0(VALU_DEP_1)
	v_add_nc_u64_e32 v[18:19], s[10:11], v[16:17]
	s_clause 0x1
	global_load_b128 v[114:117], v[18:19], off
	global_load_b64 v[102:103], v20, s[10:11] offset:16 scale_offset
	s_clause 0x1
	global_load_b64 v[112:113], v11, s[6:7] scale_offset
	global_load_b64 v[22:23], v11, s[8:9] scale_offset
	s_wait_loadcnt 0x3
	s_wait_xcnt 0x3
	v_mul_f64_e32 v[18:19], v[36:37], v[114:115]
	s_wait_loadcnt 0x0
	scratch_store_b64 off, v[22:23], off offset:408 ; 8-byte Folded Spill
	s_wait_xcnt 0x0
	v_fma_f64 v[22:23], 2.0, v[112:113], v[22:23]
	v_mul_f64_e32 v[42:43], v[114:115], v[18:19]
	s_delay_alu instid0(VALU_DEP_2)
	v_mul_f64_e32 v[36:37], v[22:23], v[116:117]
	scratch_store_b64 off, v[22:23], off offset:424 ; 8-byte Folded Spill
	s_clause 0x1
	global_load_b64 v[110:111], v10, s[6:7] scale_offset
	global_load_b64 v[10:11], v10, s[8:9] scale_offset
	v_mul_f64_e32 v[18:19], v[0:1], v[42:43]
	v_mul_f64_e32 v[36:37], v[116:117], v[36:37]
	s_delay_alu instid0(VALU_DEP_2) | instskip(NEXT) | instid1(VALU_DEP_2)
	v_fma_f64 v[40:41], v[76:77], v[24:25], v[18:19]
	v_mul_f64_e32 v[38:39], v[2:3], v[36:37]
	s_delay_alu instid0(VALU_DEP_2) | instskip(NEXT) | instid1(VALU_DEP_2)
	v_fmamk_f64 v[40:41], v[40:41], 0xbfe80000, v[34:35]
	v_fma_f64 v[46:47], v[76:77], v[24:25], v[38:39]
	v_fma_f64 v[24:25], v[78:79], v[26:27], v[18:19]
	s_delay_alu instid0(VALU_DEP_1)
	v_fmac_f64_e32 v[46:47], 0x40080000, v[24:25]
	v_fma_f64 v[24:25], v[2:3], v[36:37], v[18:19]
	s_wait_loadcnt 0x0
	scratch_store_b64 off, v[10:11], off offset:352 ; 8-byte Folded Spill
	s_wait_xcnt 0x0
	v_fma_f64 v[10:11], 2.0, v[110:111], v[10:11]
	scratch_store_b64 off, v[10:11], off offset:376 ; 8-byte Folded Spill
	s_wait_xcnt 0x0
	v_mul_f64_e32 v[10:11], v[10:11], v[102:103]
	s_delay_alu instid0(VALU_DEP_1) | instskip(NEXT) | instid1(VALU_DEP_1)
	v_mul_f64_e32 v[10:11], v[102:103], v[10:11]
	v_fmac_f64_e32 v[34:35], v[48:49], v[10:11]
	v_fmac_f64_e32 v[18:19], v[48:49], v[10:11]
	v_add_nc_u64_e32 v[10:11], s[4:5], v[16:17]
	s_delay_alu instid0(VALU_DEP_3) | instskip(NEXT) | instid1(VALU_DEP_3)
	v_fmac_f64_e32 v[34:35], 0x40080000, v[24:25]
	v_fmac_f64_e32 v[38:39], 0xbfe80000, v[18:19]
	s_clause 0x2
	global_load_b128 v[24:27], v[10:11], off
	global_load_b128 v[16:19], v[10:11], off offset:-16
	global_load_b64 v[10:11], v20, s[4:5] offset:16 scale_offset
	s_clause 0x4
	scratch_store_b64 off, v[20:21], off offset:200
	scratch_store_b128 off, v[94:97], off offset:272
	scratch_store_b64 off, v[110:111], off offset:368
	scratch_store_b64 off, v[102:103], off offset:320
	;; [unrolled: 1-line block ×3, first 2 shown]
	s_wait_loadcnt 0x1
	v_add_f64_e64 v[18:19], v[18:19], -v[24:25]
	v_add_f64_e64 v[16:17], v[16:17], -v[24:25]
	s_wait_loadcnt 0x0
	v_add_f64_e64 v[10:11], v[10:11], -v[24:25]
	s_delay_alu instid0(VALU_DEP_3) | instskip(NEXT) | instid1(VALU_DEP_1)
	v_mul_f64_e32 v[18:19], v[46:47], v[18:19]
	v_fmac_f64_e32 v[18:19], v[40:41], v[16:17]
	v_add_f64_e64 v[16:17], v[26:27], -v[24:25]
	s_delay_alu instid0(VALU_DEP_1) | instskip(NEXT) | instid1(VALU_DEP_1)
	v_fmac_f64_e32 v[18:19], v[34:35], v[16:17]
	v_fmac_f64_e32 v[18:19], v[38:39], v[10:11]
	s_delay_alu instid0(VALU_DEP_1) | instskip(NEXT) | instid1(VALU_DEP_1)
	v_mul_f64_e32 v[10:11], 0x3fc5555555555555, v[18:19]
	v_fma_f64 v[62:63], v[50:51], v[10:11], 0
	v_dual_mul_f64 v[42:43], v[4:5], v[42:43] :: v_dual_add_nc_u32 v10, -2, v13
	s_delay_alu instid0(VALU_DEP_1) | instskip(NEXT) | instid1(VALU_DEP_1)
	v_mul_lo_u32 v15, v10, s40
	v_add_nc_u32_e32 v16, s40, v15
	v_add3_u32 v71, v15, v9, v8
	v_add_nc_u32_e32 v66, v8, v15
	s_delay_alu instid0(VALU_DEP_3) | instskip(SKIP_1) | instid1(VALU_DEP_4)
	v_lshl_add_u32 v23, s40, 1, v16
	v_add3_u32 v108, v16, v9, v8
	v_dual_add_nc_u32 v17, s14, v71 :: v_dual_add_nc_u32 v57, v8, v16
	s_delay_alu instid0(VALU_DEP_4) | instskip(NEXT) | instid1(VALU_DEP_4)
	v_add_nc_u32_e32 v13, v66, v14
	v_add3_u32 v109, v23, v9, v8
	s_delay_alu instid0(VALU_DEP_4)
	v_dual_add_nc_u32 v22, s14, v108 :: v_dual_add_nc_u32 v67, v8, v23
	global_load_b64 v[88:89], v17, s[10:11] scale_offset
	v_dual_add_nc_u32 v15, v57, v14 :: v_dual_add_nc_u32 v26, s14, v109
	global_load_b64 v[98:99], v22, s[10:11] scale_offset
	s_clause 0x1
	global_load_b64 v[68:69], v13, s[6:7] scale_offset
	global_load_b64 v[92:93], v15, s[6:7] scale_offset
	global_load_b64 v[64:65], v26, s[10:11] scale_offset
	v_add_nc_u32_e32 v16, v67, v14
	global_load_b64 v[100:101], v16, s[6:7] scale_offset
	s_wait_loadcnt 0x0
	s_wait_xcnt 0xa
	v_mul_f64_e32 v[20:21], v[100:101], v[64:65]
	s_delay_alu instid0(VALU_DEP_1) | instskip(NEXT) | instid1(VALU_DEP_1)
	v_dual_mul_f64 v[40:41], v[64:65], v[20:21] :: v_dual_add_nc_u32 v20, s40, v23
	v_add_nc_u32_e32 v70, v8, v20
	s_delay_alu instid0(VALU_DEP_1)
	v_add_nc_u32_e32 v14, v70, v14
	global_load_b64 v[104:105], v14, s[6:7] scale_offset
	v_mul_f64_e32 v[10:11], v[68:69], v[88:89]
	scratch_store_b64 off, v[40:41], off offset:480 ; 8-byte Folded Spill
	v_mul_f64_e32 v[36:37], v[88:89], v[10:11]
	v_mul_f64_e32 v[10:11], v[92:93], v[98:99]
	scratch_store_b64 off, v[36:37], off offset:456 ; 8-byte Folded Spill
	v_mul_f64_e32 v[38:39], v[98:99], v[10:11]
	v_mul_f64_e32 v[10:11], v[32:33], v[114:115]
	;; [unrolled: 1-line block ×3, first 2 shown]
	s_delay_alu instid0(VALU_DEP_3) | instskip(NEXT) | instid1(VALU_DEP_3)
	v_mul_f64_e32 v[34:35], v[74:75], v[38:39]
	v_mul_f64_e32 v[10:11], v[114:115], v[10:11]
	v_add3_u32 v114, v20, v9, v8
	s_delay_alu instid0(VALU_DEP_1) | instskip(SKIP_4) | instid1(VALU_DEP_1)
	v_add_nc_u32_e32 v23, s14, v114
	global_load_b64 v[86:87], v23, s[10:11] scale_offset
	v_mul_f64_e32 v[18:19], v[4:5], v[10:11]
	s_wait_loadcnt 0x0
	v_mul_f64_e32 v[8:9], v[104:105], v[86:87]
	v_mul_f64_e32 v[46:47], v[86:87], v[8:9]
	s_delay_alu instid0(VALU_DEP_3)
	v_fma_f64 v[8:9], v[72:73], v[36:37], v[18:19]
	s_wait_xcnt 0x1
	v_fma_f64 v[36:37], v[72:73], v[36:37], v[32:33]
	scratch_store_b64 off, v[46:47], off offset:488 ; 8-byte Folded Spill
	v_fmamk_f64 v[20:21], v[8:9], 0xbfe80000, v[34:35]
	v_fma_f64 v[8:9], v[74:75], v[38:39], v[18:19]
	v_fmac_f64_e32 v[34:35], v[60:61], v[46:47]
	s_delay_alu instid0(VALU_DEP_2) | instskip(SKIP_2) | instid1(VALU_DEP_2)
	v_fmac_f64_e32 v[36:37], 0x40080000, v[8:9]
	v_fma_f64 v[8:9], v[6:7], v[40:41], v[18:19]
	v_fmac_f64_e32 v[18:19], v[60:61], v[46:47]
	v_fmac_f64_e32 v[34:35], 0x40080000, v[8:9]
	s_delay_alu instid0(VALU_DEP_2)
	v_fmac_f64_e32 v[32:33], 0xbfe80000, v[18:19]
	s_clause 0x1
	global_load_b64 v[8:9], v17, s[4:5] scale_offset
	global_load_b64 v[18:19], v22, s[4:5] scale_offset
	s_wait_loadcnt 0x1
	v_add_f64_e64 v[8:9], v[8:9], -v[24:25]
	s_wait_loadcnt 0x0
	v_add_f64_e64 v[18:19], v[18:19], -v[24:25]
	s_delay_alu instid0(VALU_DEP_1) | instskip(NEXT) | instid1(VALU_DEP_1)
	v_mul_f64_e32 v[18:19], v[36:37], v[18:19]
	v_fmac_f64_e32 v[18:19], v[20:21], v[8:9]
	global_load_b64 v[8:9], v26, s[4:5] scale_offset
	s_wait_loadcnt 0x0
	v_add_f64_e64 v[8:9], v[8:9], -v[24:25]
	s_delay_alu instid0(VALU_DEP_1)
	v_fmac_f64_e32 v[18:19], v[34:35], v[8:9]
	global_load_b64 v[8:9], v23, s[4:5] scale_offset
	s_wait_xcnt 0x0
	v_mov_b64_e32 v[22:23], v[116:117]
	s_clause 0x1
	scratch_store_b64 off, v[82:83], off offset:416
	scratch_store_b128 off, v[20:23], off offset:392
	s_wait_loadcnt 0x0
	v_add_f64_e64 v[8:9], v[8:9], -v[24:25]
	v_mul_f64_e32 v[24:25], v[110:111], v[102:103]
	s_delay_alu instid0(VALU_DEP_2) | instskip(NEXT) | instid1(VALU_DEP_2)
	v_fmac_f64_e32 v[18:19], v[32:33], v[8:9]
	v_mul_f64_e32 v[46:47], v[102:103], v[24:25]
	s_delay_alu instid0(VALU_DEP_2) | instskip(SKIP_2) | instid1(VALU_DEP_3)
	v_mul_f64_e32 v[8:9], 0x3fc5555555555555, v[18:19]
	v_mul_f64_e32 v[18:19], v[0:1], v[10:11]
	;; [unrolled: 1-line block ×3, first 2 shown]
	v_fmac_f64_e32 v[62:63], v[52:53], v[8:9]
	v_mul_f64_e32 v[8:9], v[84:85], v[94:95]
	s_wait_xcnt 0x0
	s_delay_alu instid0(VALU_DEP_3) | instskip(SKIP_1) | instid1(VALU_DEP_3)
	v_mul_f64_e32 v[22:23], v[116:117], v[10:11]
	v_mov_b64_e32 v[84:85], v[112:113]
	v_mul_f64_e32 v[40:41], v[94:95], v[8:9]
	v_mul_f64_e32 v[8:9], v[82:83], v[96:97]
	scratch_store_b64 off, v[38:39], off offset:472 ; 8-byte Folded Spill
	v_dual_mul_f64 v[10:11], v[2:3], v[22:23] :: v_dual_add_nc_u32 v82, s24, v28
	s_delay_alu instid0(VALU_DEP_1)
	v_dual_fma_f64 v[24:25], v[76:77], v[40:41], v[18:19] :: v_dual_ashrrev_i32 v83, 31, v82
	v_mul_f64_e32 v[26:27], v[96:97], v[8:9]
	scratch_store_b64 off, v[40:41], off offset:448 ; 8-byte Folded Spill
	s_wait_xcnt 0x0
	v_fma_f64 v[40:41], v[76:77], v[40:41], v[10:11]
	s_clause 0x4
	scratch_store_b128 off, v[76:79], off offset:232
	scratch_store_b64 off, v[26:27], off offset:432
	scratch_store_b64 off, v[22:23], off offset:440
	;; [unrolled: 1-line block ×4, first 2 shown]
	v_mul_f64_e32 v[8:9], v[78:79], v[26:27]
	s_delay_alu instid0(VALU_DEP_1) | instskip(SKIP_2) | instid1(VALU_DEP_2)
	v_fmamk_f64 v[38:39], v[24:25], 0xbfe80000, v[8:9]
	v_fma_f64 v[24:25], v[78:79], v[26:27], v[18:19]
	v_fmac_f64_e32 v[8:9], v[48:49], v[46:47]
	v_fmac_f64_e32 v[40:41], 0x40080000, v[24:25]
	v_fma_f64 v[24:25], v[2:3], v[22:23], v[18:19]
	v_fmac_f64_e32 v[18:19], v[48:49], v[46:47]
	s_wait_xcnt 0x0
	v_lshl_add_u64 v[46:47], v[82:83], 3, s[4:5]
	s_delay_alu instid0(VALU_DEP_3) | instskip(NEXT) | instid1(VALU_DEP_3)
	v_fmac_f64_e32 v[8:9], 0x40080000, v[24:25]
	v_fmac_f64_e32 v[10:11], 0xbfe80000, v[18:19]
	v_add_nc_u64_e32 v[18:19], s[24:25], v[28:29]
	s_delay_alu instid0(VALU_DEP_1)
	v_lshl_add_u64 v[18:19], v[18:19], 3, s[4:5]
	s_clause 0x2
	global_load_b64 v[18:19], v[18:19], off offset:-16
	global_load_b128 v[24:27], v[46:47], off offset:8
	global_load_b128 v[46:49], v[46:47], off offset:-8
	s_wait_loadcnt 0x0
	v_add_f64_e64 v[46:47], v[46:47], -v[48:49]
	v_add_f64_e64 v[18:19], v[18:19], -v[48:49]
	s_delay_alu instid0(VALU_DEP_2) | instskip(NEXT) | instid1(VALU_DEP_1)
	v_mul_f64_e32 v[46:47], v[40:41], v[46:47]
	v_fmac_f64_e32 v[46:47], v[38:39], v[18:19]
	v_add_f64_e64 v[18:19], v[24:25], -v[48:49]
	s_delay_alu instid0(VALU_DEP_1) | instskip(SKIP_1) | instid1(VALU_DEP_1)
	v_fmac_f64_e32 v[46:47], v[8:9], v[18:19]
	v_add_f64_e64 v[18:19], v[26:27], -v[48:49]
	v_fmac_f64_e32 v[46:47], v[10:11], v[18:19]
	s_delay_alu instid0(VALU_DEP_1) | instskip(NEXT) | instid1(VALU_DEP_1)
	v_mul_f64_e32 v[18:19], 0x3fc5555555555555, v[46:47]
	v_fma_f64 v[112:113], v[50:51], v[18:19], 0
	global_load_b64 v[18:19], v13, s[8:9] scale_offset
	scratch_store_b64 off, v[68:69], off offset:256 ; 8-byte Folded Spill
	s_wait_loadcnt 0x0
	scratch_store_b64 off, v[18:19], off offset:32 ; 8-byte Folded Spill
	global_load_b64 v[22:23], v15, s[8:9] scale_offset
	s_wait_xcnt 0x1
	v_dual_fma_f64 v[18:19], 2.0, v[68:69], v[18:19] :: v_dual_add_nc_u32 v68, s24, v71
	scratch_store_b64 off, v[88:89], off offset:80 ; 8-byte Folded Spill
	v_ashrrev_i32_e32 v69, 31, v68
	scratch_store_b64 off, v[18:19], off offset:512 ; 8-byte Folded Spill
	s_wait_xcnt 0x0
	v_mul_f64_e32 v[18:19], v[88:89], v[18:19]
	scratch_store_b64 off, v[92:93], off offset:264 ; 8-byte Folded Spill
	s_wait_loadcnt 0x0
	scratch_store_b64 off, v[22:23], off offset:16 ; 8-byte Folded Spill
	global_load_b64 v[16:17], v16, s[8:9] scale_offset
	s_wait_xcnt 0x1
	v_fma_f64 v[22:23], 2.0, v[92:93], v[22:23]
	v_mul_f64_e32 v[18:19], v[88:89], v[18:19]
	s_clause 0x1
	scratch_store_b64 off, v[98:99], off offset:88
	scratch_store_b64 off, v[22:23], off offset:496
	s_wait_xcnt 0x0
	v_dual_mul_f64 v[24:25], v[98:99], v[22:23] :: v_dual_add_nc_u32 v22, s24, v108
	scratch_store_b64 off, v[100:101], off offset:296 ; 8-byte Folded Spill
	s_wait_loadcnt 0x0
	scratch_store_b64 off, v[16:17], off offset:24 ; 8-byte Folded Spill
	global_load_b64 v[14:15], v14, s[8:9] scale_offset
	s_wait_xcnt 0x1
	v_fma_f64 v[16:17], 2.0, v[100:101], v[16:17]
	v_dual_mul_f64 v[24:25], v[98:99], v[24:25] :: v_dual_ashrrev_i32 v23, 31, v22
	s_clause 0x1
	scratch_store_b64 off, v[64:65], off
	scratch_store_b64 off, v[16:17], off offset:504
	s_wait_xcnt 0x0
	v_mul_f64_e32 v[16:17], v[64:65], v[16:17]
	v_mul_f64_e32 v[26:27], v[74:75], v[24:25]
	v_fma_f64 v[24:25], v[74:75], v[24:25], v[42:43]
	scratch_store_b64 off, v[104:105], off offset:328 ; 8-byte Folded Spill
	s_wait_loadcnt 0x0
	scratch_store_b64 off, v[14:15], off offset:40 ; 8-byte Folded Spill
	s_wait_xcnt 0x0
	v_fma_f64 v[14:15], 2.0, v[104:105], v[14:15]
	v_mul_f64_e32 v[16:17], v[64:65], v[16:17]
	v_fma_f64 v[64:65], v[72:73], v[18:19], v[42:43]
	s_clause 0x7
	scratch_store_b64 off, v[86:87], off offset:8
	scratch_store_b128 off, v[72:75], off offset:184
	scratch_store_b64 off, v[60:61], off offset:208
	scratch_store_b32 off, v71, off offset:336
	scratch_store_b32 off, v108, off offset:348
	scratch_store_b32 off, v109, off offset:384
	scratch_store_b32 off, v114, off offset:388
	scratch_store_b64 off, v[14:15], off offset:528
	s_wait_xcnt 0x0
	v_mul_f64_e32 v[14:15], v[86:87], v[14:15]
	v_mul_f64_e32 v[46:47], v[6:7], v[16:17]
	v_fmamk_f64 v[64:65], v[64:65], 0xbfe80000, v[26:27]
	v_fma_f64 v[16:17], v[6:7], v[16:17], v[42:43]
	s_delay_alu instid0(VALU_DEP_4) | instskip(NEXT) | instid1(VALU_DEP_4)
	v_mul_f64_e32 v[14:15], v[86:87], v[14:15]
	v_fma_f64 v[18:19], v[72:73], v[18:19], v[46:47]
	v_add_nc_u32_e32 v72, s24, v114
	s_delay_alu instid0(VALU_DEP_1) | instskip(NEXT) | instid1(VALU_DEP_4)
	v_ashrrev_i32_e32 v73, 31, v72
	v_fmac_f64_e32 v[26:27], v[60:61], v[14:15]
	v_fmac_f64_e32 v[42:43], v[60:61], v[14:15]
	global_load_b64 v[14:15], v68, s[4:5] scale_offset
	v_fmac_f64_e32 v[18:19], 0x40080000, v[24:25]
	v_add_nc_u32_e32 v60, s14, v82
	s_delay_alu instid0(VALU_DEP_1)
	v_ashrrev_i32_e32 v61, 31, v60
	v_fmac_f64_e32 v[26:27], 0x40080000, v[16:17]
	global_load_b64 v[16:17], v22, s[4:5] scale_offset
	v_fmac_f64_e32 v[46:47], 0xbfe80000, v[42:43]
	s_wait_loadcnt 0x1
	v_add_f64_e64 v[14:15], v[14:15], -v[48:49]
	s_wait_loadcnt 0x0
	v_add_f64_e64 v[16:17], v[16:17], -v[48:49]
	s_delay_alu instid0(VALU_DEP_1) | instskip(SKIP_1) | instid1(VALU_DEP_2)
	v_mul_f64_e32 v[16:17], v[16:17], v[18:19]
	v_lshl_add_u64 v[18:19], v[60:61], 3, s[4:5]
	v_fmac_f64_e32 v[16:17], v[14:15], v[64:65]
	v_add_nc_u32_e32 v64, s24, v109
	global_load_b64 v[14:15], v64, s[4:5] scale_offset
	v_ashrrev_i32_e32 v65, 31, v64
	s_wait_loadcnt 0x0
	v_add_f64_e64 v[14:15], v[14:15], -v[48:49]
	s_delay_alu instid0(VALU_DEP_1) | instskip(SKIP_3) | instid1(VALU_DEP_1)
	v_fmac_f64_e32 v[16:17], v[14:15], v[26:27]
	global_load_b64 v[14:15], v72, s[4:5] scale_offset
	s_wait_loadcnt 0x0
	v_add_f64_e64 v[14:15], v[14:15], -v[48:49]
	v_fmac_f64_e32 v[16:17], v[14:15], v[46:47]
	s_delay_alu instid0(VALU_DEP_1) | instskip(NEXT) | instid1(VALU_DEP_1)
	v_mul_f64_e32 v[14:15], 0x3fc5555555555555, v[16:17]
	v_fmac_f64_e32 v[112:113], v[52:53], v[14:15]
	v_add_nc_u64_e32 v[14:15], s[26:27], v[28:29]
	s_delay_alu instid0(VALU_DEP_1)
	v_lshl_add_u64 v[14:15], v[14:15], 3, s[4:5]
	s_clause 0x2
	global_load_b64 v[42:43], v[14:15], off offset:-16
	global_load_b128 v[14:17], v[18:19], off offset:8
	global_load_b128 v[24:27], v[18:19], off offset:-8
	s_clause 0x3
	scratch_store_b64 off, v[22:23], off offset:520
	scratch_store_b64 off, v[68:69], off offset:544
	;; [unrolled: 1-line block ×4, first 2 shown]
	s_wait_loadcnt 0x0
	v_add_f64_e64 v[24:25], v[24:25], -v[26:27]
	s_wait_xcnt 0x4
	v_add_f64_e64 v[18:19], v[42:43], -v[26:27]
	v_add_f64_e64 v[14:15], v[14:15], -v[26:27]
	s_delay_alu instid0(VALU_DEP_3) | instskip(NEXT) | instid1(VALU_DEP_1)
	v_mul_f64_e32 v[24:25], v[40:41], v[24:25]
	v_fmac_f64_e32 v[24:25], v[38:39], v[18:19]
	v_add3_u32 v19, s41, s37, v45
	s_lshl_b32 s37, s39, 1
	v_add_nc_u32_e32 v18, s13, v12
	s_add_co_i32 s37, s34, s37
	s_delay_alu instid0(SALU_CYCLE_1) | instskip(NEXT) | instid1(SALU_CYCLE_1)
	s_sub_co_i32 s37, s37, s42
	s_add_co_i32 s37, s37, -5
	s_delay_alu instid0(VALU_DEP_1) | instskip(SKIP_1) | instid1(VALU_DEP_4)
	v_mad_u32 v13, v19, s40, v18
	s_mul_i32 s37, s37, s36
	v_fmac_f64_e32 v[24:25], v[8:9], v[14:15]
	v_dual_add_f64 v[8:9], v[16:17], -v[26:27] :: v_dual_sub_nc_u32 v14, s34, v44
	s_delay_alu instid0(VALU_DEP_1) | instskip(NEXT) | instid1(VALU_DEP_2)
	v_add_nc_u32_e32 v15, 0x17a, v14
	v_fmac_f64_e32 v[24:25], v[10:11], v[8:9]
	s_delay_alu instid0(VALU_DEP_1) | instskip(NEXT) | instid1(VALU_DEP_1)
	v_mul_f64_e32 v[8:9], 0x3fc5555555555555, v[24:25]
	v_fma_f64 v[48:49], v[50:51], v[8:9], 0
	v_add_nc_u32_e32 v8, s14, v68
	s_delay_alu instid0(VALU_DEP_1)
	v_ashrrev_i32_e32 v9, 31, v8
	scratch_store_b64 off, v[8:9], off offset:568 ; 8-byte Folded Spill
	global_load_b64 v[8:9], v8, s[4:5] scale_offset
	s_wait_loadcnt 0x0
	v_add_f64_e64 v[10:11], v[8:9], -v[26:27]
	s_wait_xcnt 0x0
	v_add_nc_u32_e32 v8, s14, v22
	s_delay_alu instid0(VALU_DEP_1) | instskip(SKIP_4) | instid1(VALU_DEP_1)
	v_ashrrev_i32_e32 v9, 31, v8
	scratch_store_b64 off, v[8:9], off offset:560 ; 8-byte Folded Spill
	global_load_b64 v[8:9], v8, s[4:5] scale_offset
	s_wait_loadcnt 0x0
	v_add_f64_e64 v[8:9], v[8:9], -v[26:27]
	v_mul_f64_e32 v[8:9], v[36:37], v[8:9]
	s_delay_alu instid0(VALU_DEP_1)
	v_fmac_f64_e32 v[8:9], v[20:21], v[10:11]
	v_add_nc_u32_e32 v10, s14, v64
	v_add3_u32 v64, s41, s37, v45
	s_mul_i32 s37, s39, 3
	s_lshl_b32 s39, s38, 2
	s_add_co_i32 s37, s34, s37
	v_ashrrev_i32_e32 v11, 31, v10
	s_sub_co_i32 s37, s37, s39
	v_mad_u32 v22, v64, s40, v18
	s_add_co_i32 s37, s37, -4
	scratch_store_b64 off, v[10:11], off offset:576 ; 8-byte Folded Spill
	global_load_b64 v[10:11], v10, s[4:5] scale_offset
	s_mul_i32 s37, s37, s36
	s_wait_loadcnt 0x0
	v_add_f64_e64 v[10:11], v[10:11], -v[26:27]
	s_delay_alu instid0(VALU_DEP_1) | instskip(SKIP_1) | instid1(VALU_DEP_1)
	v_fmac_f64_e32 v[8:9], v[34:35], v[10:11]
	v_add_nc_u32_e32 v10, s14, v72
	v_ashrrev_i32_e32 v11, 31, v10
	scratch_store_b64 off, v[10:11], off offset:584 ; 8-byte Folded Spill
	global_load_b64 v[10:11], v10, s[4:5] scale_offset
	s_wait_loadcnt 0x0
	v_add_f64_e64 v[10:11], v[10:11], -v[26:27]
	s_delay_alu instid0(VALU_DEP_1) | instskip(NEXT) | instid1(VALU_DEP_1)
	v_fmac_f64_e32 v[8:9], v[32:33], v[10:11]
	v_mul_f64_e32 v[8:9], 0x3fc5555555555555, v[8:9]
	s_delay_alu instid0(VALU_DEP_1) | instskip(SKIP_2) | instid1(SALU_CYCLE_1)
	v_fmac_f64_e32 v[48:49], v[52:53], v[8:9]
	v_add3_u32 v8, s41, s37, v45
	s_sub_co_i32 s37, s17, s38
	s_mul_i32 s37, s37, s36
	s_mov_b32 s36, s17
	v_add3_u32 v65, s41, s37, v45
	v_mad_u32 v23, v8, s40, v18
	s_delay_alu instid0(VALU_DEP_2)
	v_mad_u32 v86, v65, s40, v18
.LBB4_2:                                ; =>This Loop Header: Depth=1
                                        ;     Child Loop BB4_3 Depth 2
	v_mov_b64_e32 v[8:9], 0
	v_mov_b64_e32 v[20:21], 0
	;; [unrolled: 1-line block ×6, first 2 shown]
	v_dual_mov_b32 v16, v15 :: v_dual_add_nc_u32 v17, s33, v86
	v_dual_add_nc_u32 v68, s33, v23 :: v_dual_add_nc_u32 v69, s33, v22
	v_add_nc_u32_e32 v71, s33, v13
	s_mov_b32 s37, s28
.LBB4_3:                                ;   Parent Loop BB4_2 Depth=1
                                        ; =>  This Inner Loop Header: Depth=2
	s_wait_xcnt 0x0
	v_add_nc_u32_e32 v12, s29, v17
	global_load_b64 v[36:37], v16, s[20:21] scale_offset
	s_wait_xcnt 0x0
	v_subrev_nc_u32_e32 v16, 48, v16
	s_add_co_i32 s37, s37, 1
	s_clause 0x1
	global_load_b64 v[38:39], v12, s[6:7] scale_offset
	global_load_b64 v[40:41], v12, s[8:9] scale_offset
	s_wait_xcnt 0x0
	v_add_nc_u32_e32 v12, s29, v71
	s_cmp_ge_i32 s37, s34
	v_dual_add_nc_u32 v71, s35, v71 :: v_dual_add_nc_u32 v17, s35, v17
	global_load_b64 v[34:35], v12, s[10:11] scale_offset
	s_wait_xcnt 0x0
	v_dual_add_nc_u32 v12, s29, v69 :: v_dual_add_nc_u32 v69, s35, v69
	s_wait_loadcnt 0x1
	v_fma_f64 v[46:47], 2.0, v[38:39], v[40:41]
	s_wait_loadcnt 0x0
	s_delay_alu instid0(VALU_DEP_1) | instskip(NEXT) | instid1(VALU_DEP_1)
	v_mul_f64_e32 v[42:43], v[46:47], v[34:35]
	v_mul_f64_e32 v[42:43], v[0:1], v[42:43]
	s_delay_alu instid0(VALU_DEP_1)
	v_mul_f64_e32 v[72:73], v[34:35], v[42:43]
	global_load_b64 v[42:43], v12, s[10:11] scale_offset
	s_wait_xcnt 0x0
	v_dual_add_nc_u32 v12, s29, v68 :: v_dual_add_nc_u32 v68, s35, v68
	s_wait_loadcnt 0x0
	v_mul_f64_e32 v[44:45], v[4:5], v[42:43]
	s_delay_alu instid0(VALU_DEP_1) | instskip(NEXT) | instid1(VALU_DEP_1)
	v_mul_f64_e32 v[44:45], v[42:43], v[44:45]
	v_mul_f64_e32 v[74:75], v[4:5], v[44:45]
	global_load_b64 v[44:45], v12, s[10:11] scale_offset
	s_wait_loadcnt 0x0
	v_fma_f64 v[78:79], v[44:45], v[44:45], v[74:75]
	v_mul_f64_e32 v[76:77], v[44:45], v[44:45]
	s_delay_alu instid0(VALU_DEP_2) | instskip(NEXT) | instid1(VALU_DEP_1)
	v_mul_f64_e32 v[78:79], v[38:39], v[78:79]
	v_fmac_f64_e32 v[78:79], v[0:1], v[72:73]
	v_mul_f64_e32 v[72:73], v[46:47], v[42:43]
	v_mul_f64_e32 v[46:47], v[46:47], v[44:45]
	s_delay_alu instid0(VALU_DEP_3) | instskip(SKIP_1) | instid1(VALU_DEP_4)
	v_fmac_f64_e32 v[32:33], v[36:37], v[78:79]
	v_mul_f64_e32 v[78:79], v[0:1], v[34:35]
	v_mul_f64_e32 v[72:73], v[4:5], v[72:73]
	s_delay_alu instid0(VALU_DEP_2) | instskip(NEXT) | instid1(VALU_DEP_2)
	v_mul_f64_e32 v[78:79], v[34:35], v[78:79]
	v_mul_f64_e32 v[72:73], v[42:43], v[72:73]
	s_delay_alu instid0(VALU_DEP_2) | instskip(SKIP_1) | instid1(VALU_DEP_2)
	v_fmac_f64_e32 v[76:77], v[0:1], v[78:79]
	v_fmac_f64_e32 v[74:75], v[0:1], v[78:79]
	v_mul_f64_e32 v[76:77], v[38:39], v[76:77]
	s_delay_alu instid0(VALU_DEP_1) | instskip(NEXT) | instid1(VALU_DEP_3)
	v_fmac_f64_e32 v[76:77], v[4:5], v[72:73]
	v_mul_f64_e32 v[72:73], v[38:39], v[74:75]
	v_add_f64_e32 v[38:39], v[38:39], v[40:41]
	s_delay_alu instid0(VALU_DEP_3) | instskip(NEXT) | instid1(VALU_DEP_3)
	v_fmac_f64_e32 v[20:21], v[36:37], v[76:77]
	v_fmac_f64_e32 v[72:73], v[44:45], v[46:47]
	s_delay_alu instid0(VALU_DEP_1) | instskip(NEXT) | instid1(VALU_DEP_4)
	v_fmac_f64_e32 v[8:9], v[36:37], v[72:73]
	v_mul_f64_e32 v[36:37], v[36:37], v[38:39]
	s_delay_alu instid0(VALU_DEP_1) | instskip(NEXT) | instid1(VALU_DEP_1)
	v_mul_f64_e32 v[34:35], v[34:35], v[36:37]
	v_fmac_f64_e32 v[24:25], v[42:43], v[34:35]
	v_fmac_f64_e32 v[26:27], v[34:35], v[44:45]
	v_mul_f64_e32 v[34:35], v[36:37], v[42:43]
	s_delay_alu instid0(VALU_DEP_1)
	v_fmac_f64_e32 v[10:11], v[34:35], v[44:45]
	s_cbranch_scc0 .LBB4_3
; %bb.4:                                ;   in Loop: Header=BB4_2 Depth=1
	s_wait_xcnt 0x0
	v_mad_u32 v12, s36, s35, v31
	v_dual_mul_f64 v[16:17], v[80:81], v[32:33] :: v_dual_add_nc_u32 v15, -6, v15
	v_mul_f64_e32 v[20:21], v[80:81], v[20:21]
	s_delay_alu instid0(VALU_DEP_4)
	v_mul_f64_e32 v[10:11], v[52:53], v[10:11]
	v_mul_f64_e32 v[8:9], v[80:81], v[8:9]
	s_add_co_i32 s37, s36, 1
	s_cmp_ge_i32 s36, s34
	global_load_b64 v[32:33], v12, s[4:5] scale_offset
	s_wait_xcnt 0x0
	v_add_nc_u32_e32 v12, s14, v12
	global_load_b64 v[34:35], v12, s[4:5] scale_offset
	s_wait_loadcnt 0x0
	v_mul_f64_e32 v[36:37], v[24:25], v[34:35]
	s_wait_xcnt 0x0
	v_dual_mul_f64 v[20:21], v[20:21], v[34:35] :: v_dual_add_nc_u32 v12, s14, v12
	s_delay_alu instid0(VALU_DEP_2) | instskip(SKIP_1) | instid1(VALU_DEP_3)
	v_fmac_f64_e32 v[36:37], v[16:17], v[32:33]
	v_mul_f64_e32 v[16:17], v[50:51], v[26:27]
	v_fmac_f64_e32 v[20:21], v[24:25], v[32:33]
	global_load_b64 v[26:27], v12, s[4:5] scale_offset
	s_wait_loadcnt 0x0
	v_fmac_f64_e32 v[20:21], v[10:11], v[26:27]
	v_mul_f64_e32 v[10:11], v[10:11], v[34:35]
	v_fmac_f64_e32 v[36:37], v[16:17], v[26:27]
	s_delay_alu instid0(VALU_DEP_3) | instskip(NEXT) | instid1(VALU_DEP_3)
	v_add_f64_e32 v[112:113], v[112:113], v[20:21]
	v_fmac_f64_e32 v[10:11], v[16:17], v[32:33]
	s_delay_alu instid0(VALU_DEP_3) | instskip(NEXT) | instid1(VALU_DEP_2)
	v_add_f64_e32 v[62:63], v[62:63], v[36:37]
	v_fmac_f64_e32 v[10:11], v[8:9], v[26:27]
	s_delay_alu instid0(VALU_DEP_1)
	v_add_f64_e32 v[48:49], v[48:49], v[10:11]
	s_cbranch_scc1 .LBB4_6
; %bb.5:                                ;   in Loop: Header=BB4_2 Depth=1
	s_mov_b32 s36, s37
	s_branch .LBB4_2
.LBB4_6:
	s_clause 0x5
	scratch_store_b32 off, v86, off offset:604
	scratch_store_b32 off, v23, off offset:600
	;; [unrolled: 1-line block ×4, first 2 shown]
	scratch_store_b64 off, v[80:81], off offset:224
	scratch_store_b64 off, v[50:51], off offset:176
	global_load_b64 v[12:13], v14, s[22:23] scale_offset
	v_dual_add_nc_u32 v10, s16, v55 :: v_dual_add_nc_u32 v8, s16, v56
	v_dual_add_nc_u32 v9, s16, v58 :: v_dual_add_nc_u32 v11, s16, v59
	s_mul_i32 s16, s34, s35
	v_add_nc_u32_e32 v126, 42, v14
	v_mov_b64_e32 v[108:109], 0
	v_mov_b64_e32 v[104:105], 0
	;; [unrolled: 1-line block ×8, first 2 shown]
	s_mov_b32 s20, s28
	s_wait_xcnt 0x0
	v_mov_b32_e32 v14, v126
	s_wait_loadcnt 0x0
	scratch_store_b64 off, v[12:13], off offset:616 ; 8-byte Folded Spill
	s_wait_xcnt 0x0
	v_add3_u32 v13, s24, s16, v30
	v_dual_add_nc_u32 v12, s16, v31 :: v_dual_ashrrev_i32 v31, 31, v30
	s_mul_i32 s16, s35, s17
	global_load_b64 v[16:17], v12, s[6:7] scale_offset
	s_wait_loadcnt 0x0
	scratch_store_b64 off, v[16:17], off offset:624 ; 8-byte Folded Spill
	global_load_b64 v[16:17], v12, s[8:9] scale_offset
	s_wait_loadcnt 0x0
	scratch_store_b64 off, v[16:17], off offset:632 ; 8-byte Folded Spill
	global_load_b64 v[16:17], v13, s[10:11] scale_offset
	s_wait_xcnt 0x0
	v_dual_add_nc_u32 v13, s14, v13 :: v_dual_add_nc_u32 v12, s35, v12
	s_wait_loadcnt 0x0
	scratch_store_b64 off, v[16:17], off offset:656 ; 8-byte Folded Spill
	global_load_b64 v[16:17], v13, s[10:11] scale_offset
	s_wait_xcnt 0x0
	v_add_nc_u32_e32 v13, s14, v13
	s_wait_loadcnt 0x0
	scratch_store_b64 off, v[16:17], off offset:664 ; 8-byte Folded Spill
	global_load_b64 v[16:17], v13, s[10:11] scale_offset
	s_wait_loadcnt 0x0
	scratch_store_b64 off, v[16:17], off offset:672 ; 8-byte Folded Spill
	global_load_b64 v[16:17], v12, s[4:5] scale_offset
	s_wait_xcnt 0x0
	v_add_nc_u32_e32 v12, s14, v12
	s_wait_loadcnt 0x0
	scratch_store_b64 off, v[16:17], off offset:640 ; 8-byte Folded Spill
	global_load_b64 v[16:17], v12, s[4:5] scale_offset
	s_wait_xcnt 0x0
	v_add_nc_u32_e32 v12, s14, v12
	global_load_b64 v[12:13], v12, s[4:5] scale_offset
	s_wait_loadcnt 0x1
	scratch_store_b64 off, v[16:17], off offset:648 ; 8-byte Folded Spill
	s_wait_loadcnt 0x0
	scratch_store_b64 off, v[12:13], off offset:608 ; 8-byte Folded Spill
	s_wait_xcnt 0x0
	v_add_nc_u32_e32 v12, v70, v11
	s_delay_alu instid0(VALU_DEP_1) | instskip(SKIP_3) | instid1(VALU_DEP_1)
	v_add_nc_u32_e32 v13, s24, v12
	global_load_b64 v[16:17], v13, s[4:5] scale_offset
	s_wait_xcnt 0x0
	v_add_nc_u32_e32 v13, v70, v10
	v_add_nc_u32_e32 v15, s24, v13
	s_wait_loadcnt 0x0
	scratch_store_b64 off, v[16:17], off offset:688 ; 8-byte Folded Spill
	global_load_b64 v[16:17], v15, s[4:5] scale_offset
	s_wait_xcnt 0x0
	v_dual_add_nc_u32 v15, v70, v9 :: v_dual_add_nc_u32 v12, s14, v12
	s_wait_loadcnt 0x0
	scratch_store_b64 off, v[16:17], off offset:696 ; 8-byte Folded Spill
	s_wait_xcnt 0x0
	v_add_nc_u32_e32 v16, s24, v15
	global_load_b64 v[16:17], v16, s[4:5] scale_offset
	s_wait_loadcnt 0x0
	scratch_store_b64 off, v[16:17], off offset:48 ; 8-byte Folded Spill
	s_wait_xcnt 0x0
	v_add_nc_u32_e32 v16, v70, v8
	v_mov_b64_e32 v[70:71], 0
	s_delay_alu instid0(VALU_DEP_2)
	v_add_nc_u32_e32 v17, s24, v16
	global_load_b64 v[20:21], v17, s[4:5] scale_offset
	s_wait_xcnt 0x0
	v_add_nc_u32_e32 v17, v66, v11
	s_wait_loadcnt 0x0
	scratch_store_b64 off, v[20:21], off offset:56 ; 8-byte Folded Spill
	s_wait_xcnt 0x0
	v_add_nc_u32_e32 v20, s24, v17
	global_load_b64 v[20:21], v20, s[4:5] scale_offset
	s_wait_loadcnt 0x0
	scratch_store_b64 off, v[20:21], off offset:704 ; 8-byte Folded Spill
	s_wait_xcnt 0x0
	v_add_nc_u32_e32 v20, v66, v10
	s_delay_alu instid0(VALU_DEP_1)
	v_add_nc_u32_e32 v21, s24, v20
	global_load_b64 v[22:23], v21, s[4:5] scale_offset
	s_wait_xcnt 0x0
	v_add_nc_u32_e32 v21, v66, v9
	s_wait_loadcnt 0x0
	scratch_store_b64 off, v[22:23], off offset:712 ; 8-byte Folded Spill
	s_wait_xcnt 0x0
	v_add_nc_u32_e32 v22, s24, v21
	global_load_b64 v[22:23], v22, s[4:5] scale_offset
	s_wait_loadcnt 0x0
	scratch_store_b64 off, v[22:23], off offset:64 ; 8-byte Folded Spill
	s_wait_xcnt 0x0
	v_add_nc_u32_e32 v22, v66, v8
	s_delay_alu instid0(VALU_DEP_1)
	v_add_nc_u32_e32 v23, s24, v22
	global_load_b64 v[24:25], v23, s[4:5] scale_offset
	s_wait_xcnt 0x0
	v_dual_add_nc_u32 v23, v67, v11 :: v_dual_add_nc_u32 v11, v57, v11
	s_wait_loadcnt 0x0
	scratch_store_b64 off, v[24:25], off offset:72 ; 8-byte Folded Spill
	s_wait_xcnt 0x0
	v_add_nc_u32_e32 v24, s24, v23
	global_load_b64 v[24:25], v24, s[4:5] scale_offset
	s_wait_loadcnt 0x0
	scratch_store_b64 off, v[24:25], off offset:736 ; 8-byte Folded Spill
	s_wait_xcnt 0x0
	v_dual_add_nc_u32 v24, v67, v10 :: v_dual_add_nc_u32 v10, v57, v10
	s_delay_alu instid0(VALU_DEP_1)
	v_add_nc_u32_e32 v25, s24, v24
	global_load_b64 v[26:27], v25, s[4:5] scale_offset
	s_wait_xcnt 0x0
	v_dual_add_nc_u32 v25, v67, v9 :: v_dual_add_nc_u32 v9, v57, v9
	s_wait_loadcnt 0x0
	scratch_store_b64 off, v[26:27], off offset:744 ; 8-byte Folded Spill
	s_wait_xcnt 0x0
	v_add_nc_u32_e32 v26, s24, v25
	global_load_b64 v[26:27], v26, s[4:5] scale_offset
	s_wait_loadcnt 0x0
	scratch_store_b64 off, v[26:27], off offset:720 ; 8-byte Folded Spill
	s_wait_xcnt 0x0
	v_dual_add_nc_u32 v26, v67, v8 :: v_dual_add_nc_u32 v8, v57, v8
	v_mov_b64_e32 v[56:57], 0
	s_delay_alu instid0(VALU_DEP_2)
	v_add_nc_u32_e32 v27, s24, v26
	global_load_b64 v[32:33], v27, s[4:5] scale_offset
	s_wait_xcnt 0x0
	v_dual_add_nc_u32 v27, s24, v11 :: v_dual_add_nc_u32 v11, s14, v11
	s_wait_loadcnt 0x0
	scratch_store_b64 off, v[32:33], off offset:728 ; 8-byte Folded Spill
	global_load_b64 v[32:33], v27, s[4:5] scale_offset
	s_wait_xcnt 0x0
	v_dual_add_nc_u32 v27, s24, v10 :: v_dual_add_nc_u32 v10, s14, v10
	s_wait_loadcnt 0x0
	scratch_store_b64 off, v[32:33], off offset:760 ; 8-byte Folded Spill
	global_load_b64 v[32:33], v27, s[4:5] scale_offset
	s_wait_xcnt 0x0
	v_dual_add_nc_u32 v27, s24, v9 :: v_dual_add_nc_u32 v9, s14, v9
	global_load_b64 v[98:99], v27, s[4:5] scale_offset
	s_wait_xcnt 0x0
	v_dual_add_nc_u32 v27, s24, v8 :: v_dual_add_nc_u32 v8, s14, v8
	global_load_b64 v[118:119], v8, s[4:5] scale_offset
	s_wait_loadcnt 0x2
	scratch_store_b64 off, v[32:33], off offset:768 ; 8-byte Folded Spill
	global_load_b64 v[32:33], v27, s[4:5] scale_offset
	s_wait_loadcnt 0x0
	scratch_store_b64 off, v[32:33], off offset:752 ; 8-byte Folded Spill
	global_load_b64 v[32:33], v12, s[4:5] scale_offset
	s_wait_xcnt 0x0
	v_add_nc_u32_e32 v12, s14, v13
	global_load_b64 v[12:13], v12, s[4:5] scale_offset
	s_wait_loadcnt 0x0
	scratch_store_b64 off, v[12:13], off offset:112 ; 8-byte Folded Spill
	s_wait_xcnt 0x0
	v_add_nc_u32_e32 v12, s14, v15
	global_load_b64 v[12:13], v12, s[4:5] scale_offset
	scratch_store_b64 off, v[32:33], off offset:104 ; 8-byte Folded Spill
	s_wait_loadcnt 0x0
	scratch_store_b64 off, v[12:13], off offset:96 ; 8-byte Folded Spill
	s_wait_xcnt 0x0
	v_add_nc_u32_e32 v12, s14, v16
	global_load_b64 v[12:13], v12, s[4:5] scale_offset
	s_wait_loadcnt 0x0
	scratch_store_b64 off, v[12:13], off offset:120 ; 8-byte Folded Spill
	s_wait_xcnt 0x0
	v_add_nc_u32_e32 v12, s14, v17
	global_load_b64 v[12:13], v12, s[4:5] scale_offset
	s_wait_loadcnt 0x0
	scratch_store_b64 off, v[12:13], off offset:776 ; 8-byte Folded Spill
	s_wait_xcnt 0x0
	v_add_nc_u32_e32 v12, s14, v20
	global_load_b64 v[12:13], v12, s[4:5] scale_offset
	s_wait_loadcnt 0x0
	scratch_store_b64 off, v[12:13], off offset:784 ; 8-byte Folded Spill
	s_wait_xcnt 0x0
	v_add_nc_u32_e32 v12, s14, v21
	global_load_b64 v[12:13], v12, s[4:5] scale_offset
	s_wait_loadcnt 0x0
	scratch_store_b64 off, v[12:13], off offset:128 ; 8-byte Folded Spill
	s_wait_xcnt 0x0
	v_add_nc_u32_e32 v12, s14, v22
	global_load_b64 v[12:13], v12, s[4:5] scale_offset
	s_wait_loadcnt 0x0
	scratch_store_b64 off, v[12:13], off offset:136 ; 8-byte Folded Spill
	s_wait_xcnt 0x0
	v_add_nc_u32_e32 v12, s14, v23
	global_load_b64 v[12:13], v12, s[4:5] scale_offset
	s_wait_loadcnt 0x0
	scratch_store_b64 off, v[12:13], off offset:792 ; 8-byte Folded Spill
	s_wait_xcnt 0x0
	v_add_nc_u32_e32 v12, s14, v24
	global_load_b64 v[12:13], v12, s[4:5] scale_offset
	s_wait_loadcnt 0x0
	scratch_store_b64 off, v[12:13], off offset:800 ; 8-byte Folded Spill
	s_wait_xcnt 0x0
	v_add_nc_u32_e32 v12, s14, v25
	global_load_b64 v[12:13], v12, s[4:5] scale_offset
	s_wait_loadcnt 0x0
	scratch_store_b64 off, v[12:13], off offset:144 ; 8-byte Folded Spill
	s_wait_xcnt 0x0
	v_add_nc_u32_e32 v12, s14, v26
	global_load_b64 v[12:13], v12, s[4:5] scale_offset
	s_wait_loadcnt 0x0
	scratch_store_b64 off, v[12:13], off offset:152 ; 8-byte Folded Spill
	s_clause 0x1
	global_load_b64 v[12:13], v11, s[4:5] scale_offset
	global_load_b64 v[10:11], v10, s[4:5] scale_offset
	s_wait_loadcnt 0x0
	scratch_store_b64 off, v[10:11], off offset:816 ; 8-byte Folded Spill
	global_load_b64 v[10:11], v9, s[4:5] scale_offset
	scratch_store_b64 off, v[12:13], off offset:808 ; 8-byte Folded Spill
	s_wait_xcnt 0x1
	v_mov_b64_e32 v[8:9], 0
	s_wait_loadcnt 0x0
	scratch_store_b64 off, v[10:11], off offset:160 ; 8-byte Folded Spill
	s_wait_xcnt 0x0
	v_mov_b64_e32 v[10:11], 0
.LBB4_7:                                ; =>This Inner Loop Header: Depth=1
	s_ashr_i32 s17, s16, 31
	global_load_b64 v[20:21], v14, s[2:3] scale_offset
	s_wait_xcnt 0x1
	v_add_nc_u64_e32 v[16:17], s[16:17], v[30:31]
	s_add_co_i32 s20, s20, 1
	s_add_co_i32 s16, s16, s35
	s_cmp_ge_i32 s20, s34
	s_wait_xcnt 0x0
	v_add_nc_u32_e32 v14, -6, v14
	s_delay_alu instid0(VALU_DEP_2) | instskip(NEXT) | instid1(VALU_DEP_1)
	v_add_nc_u64_e32 v[24:25], s[14:15], v[16:17]
	v_lshl_add_u64 v[40:41], v[24:25], 3, s[4:5]
	global_load_b128 v[24:27], v[40:41], off offset:-16
	s_wait_loadcnt 0x0
	v_fma_f64 v[124:125], -v[20:21], v[24:25], v[124:125]
	v_add_nc_u64_e32 v[24:25], s[24:25], v[16:17]
	v_add_nc_u64_e32 v[16:17], s[26:27], v[16:17]
	v_fma_f64 v[122:123], -v[20:21], v[26:27], v[122:123]
	s_delay_alu instid0(VALU_DEP_3) | instskip(NEXT) | instid1(VALU_DEP_3)
	v_lshl_add_u64 v[42:43], v[24:25], 3, s[4:5]
	v_lshl_add_u64 v[16:17], v[16:17], 3, s[4:5]
	s_clause 0x2
	global_load_b128 v[24:27], v[40:41], off offset:8
	global_load_b128 v[32:35], v[42:43], off offset:-16
	global_load_b128 v[36:39], v[16:17], off offset:-16
	s_wait_loadcnt 0x2
	v_fma_f64 v[102:103], -v[20:21], v[26:27], v[102:103]
	v_fma_f64 v[114:115], -v[20:21], v[24:25], v[114:115]
	s_wait_loadcnt 0x1
	v_fma_f64 v[94:95], -v[20:21], v[32:33], v[94:95]
	v_fma_f64 v[72:73], -v[20:21], v[34:35], v[72:73]
	global_load_b128 v[32:35], v[42:43], off offset:8
	s_wait_loadcnt 0x1
	v_fma_f64 v[10:11], -v[20:21], v[36:37], v[10:11]
	v_fma_f64 v[8:9], -v[20:21], v[38:39], v[8:9]
	s_wait_loadcnt 0x0
	v_fma_f64 v[70:71], -v[20:21], v[34:35], v[70:71]
	global_load_b128 v[34:37], v[16:17], off offset:8
	v_fma_f64 v[56:57], -v[20:21], v[32:33], v[56:57]
	s_wait_loadcnt 0x0
	v_fma_f64 v[108:109], -v[20:21], v[36:37], v[108:109]
	v_fma_f64 v[104:105], -v[20:21], v[34:35], v[104:105]
	s_cbranch_scc0 .LBB4_7
; %bb.8:
	s_lshl_b32 s14, s14, 2
	s_wait_xcnt 0x0
	v_lshl_add_u64 v[16:17], v[82:83], 3, s[10:11]
	s_ashr_i32 s15, s14, 31
	v_lshl_add_u64 v[20:21], v[60:61], 3, s[10:11]
	v_add_nc_u64_e32 v[14:15], s[14:15], v[28:29]
	s_clause 0x3
	scratch_store_b64 off, v[62:63], off offset:360
	scratch_store_b64 off, v[52:53], off offset:288
	;; [unrolled: 1-line block ×4, first 2 shown]
	v_dual_add_nc_u32 v12, -2, v65 :: v_dual_add_nc_u32 v13, -2, v19
	s_mul_i32 s15, s19, 3
	v_lshl_add_u64 v[24:25], v[14:15], 3, s[10:11]
	s_clause 0x5
	global_load_b128 v[50:53], v[16:17], off offset:8
	global_load_b128 v[36:39], v[16:17], off offset:-16
	global_load_b128 v[88:91], v[20:21], off offset:8
	global_load_b128 v[14:17], v[20:21], off offset:-16
	;; [unrolled: 2-line block ×3, first 2 shown]
	v_mul_lo_u32 v12, v12, s40
	v_mul_lo_u32 v13, v13, s40
	v_add_nc_u32_e32 v19, -2, v64
	s_lshl_b32 s16, s18, 2
	s_lshl_b32 s17, s19, 2
	s_add_co_i32 s13, s13, s12
	s_lshl_b32 s12, s18, 1
	v_mov_b64_e32 v[58:59], 0
	v_mov_b64_e32 v[120:121], 0
	;; [unrolled: 1-line block ×5, first 2 shown]
	v_add_nc_u32_e32 v22, v18, v13
	v_mul_lo_u32 v19, v19, s40
	s_wait_xcnt 0x2
	v_add_nc_u32_e32 v20, v18, v12
	v_mov_b64_e32 v[66:67], 0
	v_mov_b64_e32 v[82:83], 0
	v_add_nc_u32_e32 v23, s15, v22
	v_subrev_nc_u32_e32 v47, s18, v22
	v_mov_b64_e32 v[92:93], 0
	v_mov_b64_e32 v[76:77], 0
	;; [unrolled: 1-line block ×4, first 2 shown]
	v_dual_add_nc_u32 v18, v18, v19 :: v_dual_add_nc_u32 v21, s15, v20
	s_wait_xcnt 0x0
	v_add_nc_u32_e32 v25, s17, v20
	v_subrev_nc_u32_e32 v32, s18, v20
	s_delay_alu instid0(VALU_DEP_3) | instskip(SKIP_3) | instid1(VALU_DEP_2)
	v_dual_mov_b32 v20, v47 :: v_dual_add_nc_u32 v24, s15, v18
	v_subrev_nc_u32_e32 v21, s16, v21
	s_mul_i32 s15, s18, 5
	v_subrev_nc_u32_e32 v46, s18, v18
	v_add_nc_u32_e32 v127, 3, v21
	v_subrev_nc_u32_e32 v21, s16, v23
	v_subrev_nc_u32_e32 v23, s16, v24
	;; [unrolled: 1-line block ×3, first 2 shown]
	s_delay_alu instid0(VALU_DEP_4) | instskip(NEXT) | instid1(VALU_DEP_3)
	v_dual_add_nc_u32 v25, s17, v22 :: v_dual_mov_b32 v79, v127
	v_dual_add_nc_u32 v26, 3, v21 :: v_dual_add_nc_u32 v27, 3, v23
	v_add3_u32 v21, s13, s19, v54
	s_delay_alu instid0(VALU_DEP_4) | instskip(NEXT) | instid1(VALU_DEP_4)
	v_dual_add_nc_u32 v30, 4, v24 :: v_dual_add_nc_u32 v24, s17, v18
	v_subrev_nc_u32_e32 v23, s15, v25
	v_mov_b64_e32 v[54:55], 0
	s_delay_alu instid0(VALU_DEP_4) | instskip(SKIP_3) | instid1(VALU_DEP_4)
	v_dual_add_nc_u32 v12, v21, v12 :: v_dual_add_nc_u32 v13, v21, v13
	v_add_nc_u32_e32 v19, v21, v19
	v_subrev_nc_u32_e32 v21, s15, v24
	v_mov_b32_e32 v18, v126
	v_subrev_nc_u32_e32 v12, s12, v12
	v_subrev_nc_u32_e32 v13, s12, v13
	s_delay_alu instid0(VALU_DEP_4) | instskip(SKIP_1) | instid1(VALU_DEP_3)
	v_dual_add_nc_u32 v31, 4, v23 :: v_dual_add_nc_u32 v34, 4, v21
	v_subrev_nc_u32_e32 v19, s12, v19
	v_dual_add_nc_u32 v35, 1, v12 :: v_dual_add_nc_u32 v64, 1, v13
	s_delay_alu instid0(VALU_DEP_3) | instskip(NEXT) | instid1(VALU_DEP_3)
	v_dual_mov_b32 v21, v32 :: v_dual_mov_b32 v29, v34
	v_dual_add_nc_u32 v65, 1, v19 :: v_dual_mov_b32 v19, v46
	s_delay_alu instid0(VALU_DEP_3) | instskip(SKIP_1) | instid1(VALU_DEP_3)
	v_dual_mov_b32 v25, v64 :: v_dual_mov_b32 v28, v35
	v_dual_mov_b32 v33, v31 :: v_dual_mov_b32 v44, v30
	;; [unrolled: 1-line block ×3, first 2 shown]
	v_mov_b32_e32 v78, v26
	s_mov_b32 s12, s28
.LBB4_9:                                ; =>This Inner Loop Header: Depth=1
	s_wait_xcnt 0x0
	v_add_nc_u32_e32 v12, s33, v21
	global_load_b64 v[74:75], v18, s[2:3] scale_offset
	v_add_nc_u32_e32 v21, s35, v21
	s_add_co_i32 s12, s12, 1
	s_wait_xcnt 0x0
	v_add_nc_u32_e32 v18, -6, v18
	global_load_b64 v[12:13], v12, s[4:5] scale_offset
	s_cmp_ge_i32 s12, s34
	s_wait_loadcnt 0x0
	v_fma_f64 v[86:87], -v[74:75], v[12:13], v[86:87]
	s_wait_xcnt 0x0
	v_dual_add_nc_u32 v12, s33, v20 :: v_dual_add_nc_u32 v20, s35, v20
	global_load_b64 v[12:13], v12, s[4:5] scale_offset
	s_wait_loadcnt 0x0
	s_wait_xcnt 0x0
	v_dual_fma_f64 v[82:83], -v[74:75], v[12:13], v[82:83] :: v_dual_add_nc_u32 v12, s33, v19
	v_add_nc_u32_e32 v19, s35, v19
	global_load_b64 v[12:13], v12, s[4:5] scale_offset
	s_wait_loadcnt 0x0
	v_fma_f64 v[96:97], -v[74:75], v[12:13], v[96:97]
	s_wait_xcnt 0x0
	v_dual_add_nc_u32 v12, s33, v28 :: v_dual_add_nc_u32 v28, s35, v28
	global_load_b64 v[12:13], v12, s[4:5] scale_offset
	s_wait_loadcnt 0x0
	v_fma_f64 v[80:81], -v[74:75], v[12:13], v[80:81]
	s_wait_xcnt 0x0
	v_dual_add_nc_u32 v12, s33, v25 :: v_dual_add_nc_u32 v25, s35, v25
	;; [unrolled: 5-line block ×6, first 2 shown]
	global_load_b64 v[12:13], v12, s[4:5] scale_offset
	s_wait_loadcnt 0x0
	s_wait_xcnt 0x0
	v_dual_fma_f64 v[58:59], -v[74:75], v[12:13], v[58:59] :: v_dual_add_nc_u32 v12, s33, v79
	v_add_nc_u32_e32 v79, s35, v79
	global_load_b64 v[12:13], v12, s[4:5] scale_offset
	s_wait_loadcnt 0x0
	s_wait_xcnt 0x0
	v_dual_fma_f64 v[76:77], -v[74:75], v[12:13], v[76:77] :: v_dual_add_nc_u32 v12, s33, v78
	v_add_nc_u32_e32 v78, s35, v78
	global_load_b64 v[12:13], v12, s[4:5] scale_offset
	s_wait_loadcnt 0x0
	v_fma_f64 v[54:55], -v[74:75], v[12:13], v[54:55]
	s_wait_xcnt 0x0
	v_dual_add_nc_u32 v12, s33, v45 :: v_dual_add_nc_u32 v45, s35, v45
	global_load_b64 v[12:13], v12, s[4:5] scale_offset
	s_wait_loadcnt 0x0
	v_fma_f64 v[120:121], -v[74:75], v[12:13], v[120:121]
	s_cbranch_scc0 .LBB4_9
; %bb.10:
	s_clause 0x1
	scratch_load_b64 v[12:13], off, off offset:424 th:TH_LOAD_LU
	scratch_load_b64 v[22:23], off, off offset:408 th:TH_LOAD_LU
	v_mul_f64_e32 v[28:29], v[84:85], v[50:51]
	scratch_store_b128 off, v[50:53], off offset:872 ; 16-byte Folded Spill
	v_mul_f64_e32 v[20:21], v[84:85], v[88:89]
	v_mul_f64_e32 v[44:45], v[84:85], v[60:61]
	s_mov_b64 s[12:13], 0x3fe5555555555555
	s_wait_loadcnt 0x1
	v_mul_f64_e32 v[18:19], v[12:13], v[50:51]
	scratch_load_b128 v[50:53], off, off offset:392 th:TH_LOAD_LU ; 16-byte Folded Reload
	s_wait_loadcnt 0x1
	v_mul_f64_e32 v[12:13], v[22:23], v[60:61]
	v_mul_f64_e32 v[24:25], v[22:23], v[88:89]
	s_wait_loadcnt 0x0
	v_mov_b64_e32 v[50:51], v[52:53]
	s_delay_alu instid0(VALU_DEP_1)
	v_mul_f64_e32 v[12:13], v[50:51], v[12:13]
	scratch_store_b128 off, v[88:91], off offset:888 ; 16-byte Folded Spill
	v_mul_f64_e32 v[18:19], v[50:51], v[18:19]
	v_mul_f64_e32 v[22:23], v[22:23], v[50:51]
	scratch_store_b64 off, v[12:13], off offset:832 ; 8-byte Folded Spill
	s_wait_xcnt 0x0
	v_mul_f64_e32 v[12:13], v[50:51], v[20:21]
	scratch_store_b64 off, v[18:19], off offset:848 ; 8-byte Folded Spill
	s_wait_xcnt 0x0
	v_mul_f64_e32 v[18:19], v[50:51], v[24:25]
	s_clause 0x1
	scratch_load_b64 v[24:25], off, off offset:680 th:TH_LOAD_LU
	scratch_store_b64 off, v[12:13], off offset:408
	s_wait_xcnt 0x0
	v_mul_f64_e32 v[12:13], v[50:51], v[28:29]
	s_clause 0x1
	scratch_load_b64 v[28:29], off, off offset:824 th:TH_LOAD_LU
	scratch_store_b64 off, v[12:13], off offset:840
	s_wait_xcnt 0x0
	v_mul_f64_e32 v[12:13], v[50:51], v[44:45]
	s_clause 0x1
	scratch_store_b64 off, v[18:19], off offset:856
	scratch_store_b64 off, v[12:13], off offset:424
	s_wait_xcnt 0x0
	v_mul_f64_e32 v[12:13], v[50:51], v[22:23]
	v_mul_f64_e32 v[22:23], v[106:107], v[16:17]
	s_clause 0x2
	scratch_load_b128 v[50:53], off, off offset:272 th:TH_LOAD_LU
	scratch_store_b64 off, v[12:13], off offset:864
	scratch_load_b64 v[12:13], off, off offset:416 th:TH_LOAD_LU
	s_wait_loadcnt 0x3
	v_mul_f64_e32 v[18:19], v[24:25], v[14:15]
	s_wait_loadcnt 0x2
	v_fma_f64 v[20:21], 2.0, v[28:29], v[24:25]
	v_mul_f64_e32 v[68:69], v[28:29], v[40:41]
	v_mul_f64_e32 v[40:41], v[24:25], v[40:41]
	;; [unrolled: 1-line block ×3, first 2 shown]
	s_delay_alu instid0(VALU_DEP_4)
	v_mul_f64_e32 v[44:45], v[20:21], v[36:37]
	scratch_load_b64 v[20:21], off, off offset:304 th:TH_LOAD_LU ; 8-byte Folded Reload
	v_mul_f64_e32 v[36:37], v[28:29], v[36:37]
	s_wait_loadcnt 0x2
	v_mul_f64_e32 v[68:69], v[50:51], v[68:69]
	v_mul_f64_e32 v[44:45], v[50:51], v[44:45]
	s_wait_loadcnt 0x1
	v_mul_f64_e32 v[16:17], v[12:13], v[16:17]
	v_mul_f64_e32 v[100:101], v[12:13], v[42:43]
	;; [unrolled: 1-line block ×3, first 2 shown]
	s_wait_loadcnt 0x0
	v_mul_f64_e32 v[84:85], v[20:21], v[38:39]
	v_mul_f64_e32 v[38:39], v[12:13], v[38:39]
	v_mov_b64_e32 v[12:13], v[106:107]
	v_mul_f64_e32 v[106:107], v[24:25], v[50:51]
	v_mul_f64_e32 v[20:21], v[124:125], v[68:69]
	s_delay_alu instid0(VALU_DEP_3)
	v_mul_f64_e32 v[90:91], v[12:13], v[52:53]
	v_mul_f64_e32 v[12:13], v[50:51], v[18:19]
	;; [unrolled: 1-line block ×4, first 2 shown]
	scratch_store_b64 off, v[12:13], off offset:952 ; 8-byte Folded Spill
	s_wait_xcnt 0x0
	v_mul_f64_e32 v[12:13], v[50:51], v[40:41]
	scratch_store_b64 off, v[12:13], off offset:936 ; 8-byte Folded Spill
	s_wait_xcnt 0x0
	v_mul_f64_e32 v[12:13], v[52:53], v[22:23]
	;; [unrolled: 3-line block ×5, first 2 shown]
	v_mul_f64_e32 v[16:17], v[52:53], v[100:101]
	scratch_store_b64 off, v[12:13], off offset:824 ; 8-byte Folded Spill
	s_wait_xcnt 0x0
	v_mul_f64_e32 v[12:13], v[50:51], v[106:107]
	v_mul_f64_e32 v[16:17], v[122:123], v[16:17]
	scratch_store_b64 off, v[12:13], off offset:968 ; 8-byte Folded Spill
	s_wait_xcnt 0x0
	v_mul_f64_e32 v[12:13], v[52:53], v[90:91]
	scratch_store_b128 off, v[60:63], off offset:304 ; 16-byte Folded Spill
	s_wait_xcnt 0x0
	v_mul_f64_e32 v[60:61], v[50:51], v[36:37]
	s_clause 0x1
	scratch_store_b64 off, v[12:13], off offset:680
	scratch_load_b128 v[12:15], off, off offset:232 th:TH_LOAD_LU
	v_mul_f64_e32 v[42:43], v[10:11], v[60:61]
	s_wait_loadcnt 0x0
	s_delay_alu instid0(VALU_DEP_1) | instskip(SKIP_2) | instid1(VALU_DEP_2)
	v_fmac_f64_e32 v[20:21], v[12:13], v[42:43]
	v_mul_f64_e32 v[42:43], v[8:9], v[38:39]
	v_mul_f64_e32 v[38:39], v[72:73], v[38:39]
	v_fmac_f64_e32 v[16:17], v[14:15], v[42:43]
	v_mul_f64_e32 v[42:43], v[94:95], v[60:61]
	s_clause 0x1
	scratch_store_b64 off, v[20:21], off offset:392
	scratch_store_b64 off, v[16:17], off offset:272
	s_wait_xcnt 0x0
	v_mul_f64_e32 v[16:17], v[12:13], v[44:45]
	v_mul_f64_e32 v[12:13], v[12:13], v[42:43]
	s_clause 0x1
	scratch_store_b64 off, v[16:17], off offset:984
	scratch_store_b64 off, v[12:13], off offset:920
	s_wait_xcnt 0x1
	v_mul_f64_e32 v[16:17], v[14:15], v[18:19]
	s_wait_xcnt 0x0
	v_mul_f64_e32 v[12:13], v[14:15], v[38:39]
	s_clause 0x7
	scratch_store_b64 off, v[16:17], off offset:976
	scratch_store_b64 off, v[12:13], off offset:912
	scratch_load_b64 v[88:89], off, off offset:704 th:TH_LOAD_LU
	scratch_load_b64 v[28:29], off, off offset:712 th:TH_LOAD_LU
	scratch_load_b64 v[12:13], off, off offset:64
	scratch_load_b64 v[14:15], off, off offset:72
	scratch_load_b64 v[52:53], off, off offset:688 th:TH_LOAD_LU
	scratch_load_b64 v[50:51], off, off offset:696 th:TH_LOAD_LU
	s_wait_loadcnt 0x4
	v_add_f64_e64 v[18:19], v[88:89], -v[28:29]
	s_wait_loadcnt 0x2
	v_add_f64_e64 v[38:39], v[12:13], -v[14:15]
	s_clause 0x1
	scratch_load_b64 v[14:15], off, off offset:56
	scratch_load_b64 v[12:13], off, off offset:48
	v_mul_f64_e32 v[18:19], 0x3fb5555555555555, v[18:19]
	s_delay_alu instid0(VALU_DEP_1) | instskip(SKIP_2) | instid1(VALU_DEP_1)
	v_fma_f64 v[18:19], v[38:39], s[12:13], -v[18:19]
	s_wait_loadcnt 0x2
	v_add_f64_e64 v[38:39], v[52:53], -v[50:51]
	v_mul_f64_e32 v[38:39], 0x3fb5555555555555, v[38:39]
	s_wait_loadcnt 0x0
	v_add_f64_e64 v[42:43], v[12:13], -v[14:15]
	scratch_load_b64 v[12:13], off, off offset:456 th:TH_LOAD_LU ; 8-byte Folded Reload
	v_fma_f64 v[38:39], v[42:43], s[12:13], -v[38:39]
	s_wait_loadcnt 0x0
	v_mul_f64_e32 v[18:19], v[12:13], v[18:19]
	scratch_load_b64 v[12:13], off, off offset:488 th:TH_LOAD_LU ; 8-byte Folded Reload
	s_wait_loadcnt 0x0
	v_fma_f64 v[12:13], v[12:13], v[38:39], -v[18:19]
	s_clause 0x4
	scratch_store_b64 off, v[12:13], off offset:416
	scratch_load_b64 v[22:23], off, off offset:760 th:TH_LOAD_LU
	scratch_load_b64 v[24:25], off, off offset:768 th:TH_LOAD_LU
	scratch_load_b64 v[100:101], off, off offset:752 th:TH_LOAD_LU
	scratch_store_b64 off, v[98:99], off offset:488
	s_wait_loadcnt 0x1
	v_add_f64_e64 v[38:39], v[22:23], -v[24:25]
	s_wait_loadcnt 0x0
	v_add_f64_e64 v[42:43], v[98:99], -v[100:101]
	s_clause 0x4
	scratch_load_b64 v[98:99], off, off offset:736 th:TH_LOAD_LU
	scratch_load_b64 v[20:21], off, off offset:744 th:TH_LOAD_LU
	;; [unrolled: 1-line block ×5, first 2 shown]
	v_mul_f64_e32 v[38:39], 0x3fb5555555555555, v[38:39]
	s_delay_alu instid0(VALU_DEP_1)
	v_fma_f64 v[38:39], v[42:43], s[12:13], -v[38:39]
	s_wait_loadcnt 0x3
	v_add_f64_e64 v[42:43], v[98:99], -v[20:21]
	s_wait_loadcnt 0x1
	v_add_f64_e64 v[44:45], v[78:79], -v[84:85]
	s_wait_loadcnt 0x0
	s_delay_alu instid0(VALU_DEP_3) | instskip(SKIP_3) | instid1(VALU_DEP_1)
	v_mul_f64_e32 v[38:39], v[12:13], v[38:39]
	scratch_load_b64 v[12:13], off, off offset:480 th:TH_LOAD_LU ; 8-byte Folded Reload
	v_add_f64_e64 v[98:99], v[98:99], -v[22:23]
	v_mul_f64_e32 v[42:43], 0x3fb5555555555555, v[42:43]
	v_fma_f64 v[42:43], v[44:45], s[12:13], -v[42:43]
	s_wait_loadcnt 0x0
	s_delay_alu instid0(VALU_DEP_1)
	v_fma_f64 v[12:13], v[12:13], v[42:43], -v[38:39]
	s_clause 0x2
	scratch_store_b64 off, v[12:13], off offset:456
	scratch_load_b64 v[12:13], off, off offset:104
	scratch_load_b64 v[14:15], off, off offset:112
	s_wait_loadcnt 0x0
	v_add_f64_e64 v[38:39], v[12:13], -v[14:15]
	s_clause 0x3
	scratch_load_b64 v[12:13], off, off offset:96
	scratch_load_b64 v[14:15], off, off offset:120
	scratch_load_b64 v[106:107], off, off offset:776 th:TH_LOAD_LU
	scratch_load_b64 v[90:91], off, off offset:784 th:TH_LOAD_LU
	v_mul_f64_e32 v[38:39], 0x3fb5555555555555, v[38:39]
	s_wait_loadcnt 0x2
	v_add_f64_e64 v[42:43], v[12:13], -v[14:15]
	s_clause 0x1
	scratch_load_b64 v[12:13], off, off offset:128
	scratch_load_b64 v[14:15], off, off offset:136
	v_fma_f64 v[38:39], v[42:43], s[12:13], -v[38:39]
	s_wait_loadcnt 0x2
	v_add_f64_e64 v[42:43], v[106:107], -v[90:91]
	s_delay_alu instid0(VALU_DEP_1)
	v_mul_f64_e32 v[42:43], 0x3fb5555555555555, v[42:43]
	s_wait_loadcnt 0x0
	v_add_f64_e64 v[44:45], v[12:13], -v[14:15]
	s_clause 0x1
	scratch_load_b64 v[12:13], off, off offset:80
	scratch_load_b64 v[14:15], off, off offset:32
	v_fma_f64 v[42:43], v[44:45], s[12:13], -v[42:43]
	s_wait_loadcnt 0x0
	v_mul_f64_e32 v[44:45], v[12:13], v[14:15]
	s_delay_alu instid0(VALU_DEP_1)
	v_mul_f64_e32 v[44:45], v[12:13], v[44:45]
	s_clause 0x1
	scratch_load_b64 v[12:13], off, off offset:8
	scratch_load_b64 v[14:15], off, off offset:40
	v_mul_f64_e32 v[42:43], v[44:45], v[42:43]
	s_wait_loadcnt 0x0
	v_mul_f64_e32 v[44:45], v[12:13], v[14:15]
	s_delay_alu instid0(VALU_DEP_1) | instskip(NEXT) | instid1(VALU_DEP_1)
	v_mul_f64_e32 v[44:45], v[12:13], v[44:45]
	v_fma_f64 v[12:13], v[44:45], v[38:39], -v[42:43]
	s_clause 0x7
	scratch_store_b64 off, v[12:13], off offset:472
	scratch_load_b64 v[68:69], off, off offset:792 th:TH_LOAD_LU
	scratch_load_b64 v[74:75], off, off offset:800 th:TH_LOAD_LU
	scratch_load_b64 v[12:13], off, off offset:152
	scratch_load_b64 v[14:15], off, off offset:144
	scratch_load_b64 v[40:41], off, off offset:808 th:TH_LOAD_LU
	scratch_load_b64 v[60:61], off, off offset:816 th:TH_LOAD_LU
	scratch_store_b64 off, v[118:119], off offset:960
	s_wait_loadcnt 0x4
	v_add_f64_e64 v[38:39], v[68:69], -v[74:75]
	s_wait_loadcnt 0x2
	v_add_f64_e64 v[44:45], v[14:15], -v[12:13]
	scratch_load_b64 v[12:13], off, off offset:160 ; 8-byte Folded Reload
	v_mul_f64_e32 v[38:39], 0x3fb5555555555555, v[38:39]
	s_delay_alu instid0(VALU_DEP_1) | instskip(SKIP_2) | instid1(VALU_DEP_1)
	v_fma_f64 v[38:39], v[44:45], s[12:13], -v[38:39]
	s_wait_loadcnt 0x1
	v_add_f64_e64 v[44:45], v[40:41], -v[60:61]
	v_mul_f64_e32 v[44:45], 0x3fb5555555555555, v[44:45]
	s_wait_loadcnt 0x0
	v_add_f64_e64 v[16:17], v[12:13], -v[118:119]
	s_clause 0x1
	scratch_load_b64 v[12:13], off, off offset:88
	scratch_load_b64 v[14:15], off, off offset:16
	s_wait_xcnt 0x3
	v_add_f64_e64 v[118:119], v[52:53], -v[88:89]
	v_add_f64_e64 v[88:89], v[20:21], -v[24:25]
	v_fma_f64 v[16:17], v[16:17], s[12:13], -v[44:45]
	s_wait_loadcnt 0x0
	v_mul_f64_e32 v[44:45], v[12:13], v[14:15]
	s_delay_alu instid0(VALU_DEP_1)
	v_mul_f64_e32 v[44:45], v[12:13], v[44:45]
	s_clause 0x1
	scratch_load_b64 v[12:13], off, off
	scratch_load_b64 v[14:15], off, off offset:24
	v_mul_f64_e32 v[16:17], v[44:45], v[16:17]
	s_wait_loadcnt 0x0
	v_mul_f64_e32 v[44:45], v[12:13], v[14:15]
	s_delay_alu instid0(VALU_DEP_1) | instskip(NEXT) | instid1(VALU_DEP_1)
	v_mul_f64_e32 v[44:45], v[12:13], v[44:45]
	v_fma_f64 v[12:13], v[44:45], v[38:39], -v[16:17]
	v_add_f64_e64 v[16:17], v[50:51], -v[28:29]
	s_clause 0x3
	scratch_store_b64 off, v[12:13], off offset:480
	scratch_load_b64 v[62:63], off, off offset:352 th:TH_LOAD_LU
	scratch_load_b128 v[12:15], off, off offset:888 th:TH_LOAD_LU
	scratch_load_b64 v[18:19], off, off offset:368 th:TH_LOAD_LU
	v_mul_f64_e32 v[16:17], 0x3fb5555555555555, v[16:17]
	s_delay_alu instid0(VALU_DEP_1) | instskip(SKIP_1) | instid1(VALU_DEP_1)
	v_fma_f64 v[16:17], v[88:89], s[12:13], -v[16:17]
	v_mul_f64_e32 v[88:89], 0x3fb5555555555555, v[118:119]
	v_fma_f64 v[88:89], v[98:99], s[12:13], -v[88:89]
	s_wait_loadcnt 0x1
	v_mov_b64_e32 v[12:13], v[14:15]
	s_delay_alu instid0(VALU_DEP_1)
	v_mul_f64_e32 v[38:39], v[62:63], v[12:13]
	s_wait_loadcnt 0x0
	v_mul_f64_e32 v[36:37], v[18:19], v[12:13]
	s_clause 0x2
	scratch_load_b64 v[12:13], off, off offset:376 th:TH_LOAD_LU
	scratch_load_b128 v[42:45], off, off offset:872 th:TH_LOAD_LU
	scratch_load_b64 v[52:53], off, off offset:320 th:TH_LOAD_LU
	s_wait_loadcnt 0x1
	v_mul_f64_e32 v[12:13], v[12:13], v[44:45]
	v_mul_f64_e32 v[28:29], v[18:19], v[44:45]
	scratch_load_b128 v[42:45], off, off offset:304 th:TH_LOAD_LU ; 16-byte Folded Reload
	s_wait_loadcnt 0x1
	v_mul_f64_e32 v[98:99], v[62:63], v[52:53]
	v_mul_f64_e32 v[12:13], v[52:53], v[12:13]
	s_delay_alu instid0(VALU_DEP_2) | instskip(SKIP_2) | instid1(VALU_DEP_1)
	v_mul_f64_e32 v[98:99], v[52:53], v[98:99]
	s_wait_loadcnt 0x0
	v_mov_b64_e32 v[14:15], v[44:45]
	v_mul_f64_e32 v[18:19], v[18:19], v[14:15]
	v_mul_f64_e32 v[50:51], v[62:63], v[14:15]
	scratch_load_b64 v[14:15], off, off offset:968 th:TH_LOAD_LU ; 8-byte Folded Reload
	v_mul_f64_e32 v[18:19], v[52:53], v[18:19]
	s_delay_alu instid0(VALU_DEP_1) | instskip(SKIP_2) | instid1(VALU_DEP_1)
	v_mul_f64_e32 v[18:19], v[102:103], v[18:19]
	s_wait_loadcnt 0x0
	v_mul_f64_e32 v[16:17], v[14:15], v[16:17]
	v_fma_f64 v[14:15], v[98:99], v[88:89], -v[16:17]
	s_clause 0x1
	scratch_store_b64 off, v[14:15], off offset:304
	scratch_load_b64 v[14:15], off, off offset:952 th:TH_LOAD_LU
	s_wait_loadcnt 0x0
	v_mul_f64_e32 v[24:25], v[94:95], v[14:15]
	scratch_load_b64 v[14:15], off, off offset:984 th:TH_LOAD_LU ; 8-byte Folded Reload
	v_mul_f64_e32 v[88:89], v[4:5], v[24:25]
	s_wait_loadcnt 0x0
	s_delay_alu instid0(VALU_DEP_1)
	v_fmac_f64_e32 v[88:89], v[124:125], v[14:15]
	scratch_load_b64 v[14:15], off, off offset:936 th:TH_LOAD_LU ; 8-byte Folded Reload
	s_wait_loadcnt 0x0
	v_fmac_f64_e32 v[88:89], v[10:11], v[14:15]
	s_clause 0x1
	scratch_load_b64 v[10:11], off, off offset:944 th:TH_LOAD_LU
	scratch_load_b64 v[14:15], off, off offset:976 th:TH_LOAD_LU
	s_wait_loadcnt 0x1
	v_mul_f64_e32 v[10:11], v[72:73], v[10:11]
	s_delay_alu instid0(VALU_DEP_1) | instskip(SKIP_1) | instid1(VALU_DEP_1)
	v_mul_f64_e32 v[10:11], v[4:5], v[10:11]
	s_wait_loadcnt 0x0
	v_fmac_f64_e32 v[10:11], v[122:123], v[14:15]
	scratch_load_b64 v[14:15], off, off offset:928 th:TH_LOAD_LU ; 8-byte Folded Reload
	s_wait_loadcnt 0x0
	v_fmac_f64_e32 v[10:11], v[8:9], v[14:15]
	v_mul_f64_e32 v[8:9], v[52:53], v[38:39]
	v_add_f64_e64 v[38:39], v[84:85], -v[100:101]
	s_clause 0x1
	scratch_store_b64 off, v[10:11], off offset:232
	scratch_load_b64 v[10:11], off, off offset:216 th:TH_LOAD_LU
	v_mul_f64_e32 v[8:9], v[70:71], v[8:9]
	s_delay_alu instid0(VALU_DEP_1) | instskip(SKIP_2) | instid1(VALU_DEP_1)
	v_mul_f64_e32 v[8:9], v[4:5], v[8:9]
	s_wait_loadcnt 0x0
	v_mul_f64_e32 v[12:13], v[10:11], v[12:13]
	v_fmac_f64_e32 v[8:9], v[102:103], v[12:13]
	v_mul_f64_e32 v[12:13], v[52:53], v[50:51]
	s_delay_alu instid0(VALU_DEP_1) | instskip(SKIP_1) | instid1(VALU_DEP_2)
	v_fmac_f64_e32 v[8:9], v[108:109], v[12:13]
	v_mul_f64_e32 v[12:13], v[52:53], v[28:29]
	v_add_f64_e64 v[8:9], v[8:9], -v[88:89]
	s_delay_alu instid0(VALU_DEP_2)
	v_mul_f64_e32 v[14:15], v[70:71], v[12:13]
	v_mul_f64_e32 v[12:13], v[108:109], v[12:13]
	scratch_load_b64 v[108:109], off, off offset:176 ; 8-byte Folded Reload
	v_fmac_f64_e32 v[18:19], v[10:11], v[12:13]
	v_mul_f64_e32 v[12:13], v[10:11], v[14:15]
	scratch_load_b64 v[10:11], off, off offset:920 th:TH_LOAD_LU ; 8-byte Folded Reload
	v_mul_f64_e32 v[14:15], v[52:53], v[36:37]
	s_wait_loadcnt 0x1
	v_mul_f64_e32 v[12:13], v[108:109], v[12:13]
	s_delay_alu instid0(VALU_DEP_1)
	v_fmac_f64_e32 v[12:13], v[102:103], v[14:15]
	s_wait_loadcnt 0x0
	v_mul_f64_e32 v[28:29], v[108:109], v[10:11]
	scratch_load_b64 v[10:11], off, off offset:904 th:TH_LOAD_LU ; 8-byte Folded Reload
	s_wait_loadcnt 0x0
	v_fmac_f64_e32 v[28:29], v[124:125], v[10:11]
	scratch_load_b64 v[10:11], off, off offset:912 th:TH_LOAD_LU ; 8-byte Folded Reload
	s_wait_loadcnt 0x0
	v_mul_f64_e32 v[124:125], v[108:109], v[10:11]
	scratch_load_b64 v[10:11], off, off offset:824 th:TH_LOAD_LU ; 8-byte Folded Reload
	s_wait_loadcnt 0x0
	v_fmac_f64_e32 v[124:125], v[122:123], v[10:11]
	s_clause 0x1
	scratch_load_b64 v[10:11], off, off offset:72 th:TH_LOAD_LU
	scratch_load_b64 v[14:15], off, off offset:56 th:TH_LOAD_LU
	s_wait_loadcnt 0x0
	v_add_f64_e64 v[20:21], v[14:15], -v[10:11]
	s_clause 0x1
	scratch_load_b64 v[10:11], off, off offset:64 th:TH_LOAD_LU
	scratch_load_b64 v[14:15], off, off offset:48 th:TH_LOAD_LU
	v_mul_f64_e32 v[20:21], 0x3fb5555555555555, v[20:21]
	s_delay_alu instid0(VALU_DEP_1)
	v_fma_f64 v[20:21], v[38:39], s[12:13], -v[20:21]
	v_add_f64_e64 v[38:39], v[74:75], -v[60:61]
	s_wait_loadcnt 0x0
	v_add_f64_e64 v[22:23], v[14:15], -v[10:11]
	scratch_load_b64 v[10:11], off, off offset:488 th:TH_LOAD_LU ; 8-byte Folded Reload
	v_mul_f64_e32 v[22:23], 0x3fb5555555555555, v[22:23]
	s_wait_loadcnt 0x0
	v_add_f64_e64 v[24:25], v[78:79], -v[10:11]
	scratch_load_b64 v[10:11], off, off offset:680 th:TH_LOAD_LU ; 8-byte Folded Reload
	v_fma_f64 v[22:23], v[24:25], s[12:13], -v[22:23]
	v_add_f64_e64 v[24:25], v[68:69], -v[40:41]
	s_wait_loadcnt 0x0
	v_mul_f64_e32 v[20:21], v[10:11], v[20:21]
	scratch_load_b64 v[10:11], off, off offset:864 th:TH_LOAD_LU ; 8-byte Folded Reload
	s_wait_loadcnt 0x0
	v_fma_f64 v[10:11], v[10:11], v[22:23], -v[20:21]
	s_clause 0x1
	scratch_store_b64 off, v[10:11], off offset:48
	scratch_load_b64 v[10:11], off, off offset:112 th:TH_LOAD_LU
	s_wait_loadcnt 0x0
	v_add_f64_e64 v[20:21], v[10:11], -v[90:91]
	scratch_load_b64 v[10:11], off, off offset:104 th:TH_LOAD_LU ; 8-byte Folded Reload
	v_mul_f64_e32 v[20:21], 0x3fb5555555555555, v[20:21]
	s_delay_alu instid0(VALU_DEP_1) | instskip(SKIP_4) | instid1(VALU_DEP_1)
	v_fma_f64 v[20:21], v[38:39], s[12:13], -v[20:21]
	s_wait_loadcnt 0x0
	v_add_f64_e64 v[22:23], v[10:11], -v[106:107]
	scratch_load_b64 v[10:11], off, off offset:448 th:TH_LOAD_LU ; 8-byte Folded Reload
	v_mul_f64_e32 v[22:23], 0x3fb5555555555555, v[22:23]
	v_fma_f64 v[22:23], v[24:25], s[12:13], -v[22:23]
	s_wait_loadcnt 0x0
	v_mul_f64_e32 v[20:21], v[10:11], v[20:21]
	scratch_load_b64 v[10:11], off, off offset:464 th:TH_LOAD_LU ; 8-byte Folded Reload
	s_wait_loadcnt 0x0
	v_fma_f64 v[10:11], v[10:11], v[22:23], -v[20:21]
	s_clause 0x2
	scratch_store_b64 off, v[10:11], off offset:216
	scratch_load_b64 v[10:11], off, off offset:120 th:TH_LOAD_LU
	scratch_load_b64 v[14:15], off, off offset:136 th:TH_LOAD_LU
	s_wait_loadcnt 0x0
	v_add_f64_e64 v[20:21], v[10:11], -v[14:15]
	s_clause 0x1
	scratch_load_b64 v[10:11], off, off offset:96 th:TH_LOAD_LU
	scratch_load_b64 v[14:15], off, off offset:128 th:TH_LOAD_LU
	v_mul_f64_e32 v[20:21], 0x3fb5555555555555, v[20:21]
	s_wait_loadcnt 0x0
	v_add_f64_e64 v[22:23], v[10:11], -v[14:15]
	s_clause 0x1
	scratch_load_b64 v[10:11], off, off offset:144 th:TH_LOAD_LU
	scratch_load_b64 v[14:15], off, off offset:160 th:TH_LOAD_LU
	v_mul_f64_e32 v[22:23], 0x3fb5555555555555, v[22:23]
	s_wait_loadcnt 0x0
	v_add_f64_e64 v[24:25], v[10:11], -v[14:15]
	s_clause 0x2
	scratch_load_b64 v[10:11], off, off offset:152 th:TH_LOAD_LU
	scratch_load_b64 v[14:15], off, off offset:960 th:TH_LOAD_LU
	;; [unrolled: 1-line block ×3, first 2 shown]
	v_fma_f64 v[22:23], v[24:25], s[12:13], -v[22:23]
	s_wait_loadcnt 0x1
	v_add_f64_e64 v[38:39], v[10:11], -v[14:15]
	scratch_load_b64 v[10:11], off, off offset:432 th:TH_LOAD_LU ; 8-byte Folded Reload
	v_fma_f64 v[20:21], v[38:39], s[12:13], -v[20:21]
	s_wait_loadcnt 0x0
	s_delay_alu instid0(VALU_DEP_1)
	v_mul_f64_e32 v[20:21], v[10:11], v[20:21]
	scratch_load_b64 v[10:11], off, off offset:440 th:TH_LOAD_LU ; 8-byte Folded Reload
	s_wait_loadcnt 0x0
	v_fma_f64 v[10:11], v[10:11], v[22:23], -v[20:21]
	v_mul_f64_e32 v[20:21], v[4:5], v[52:53]
	s_clause 0x4
	scratch_store_b64 off, v[10:11], off offset:56
	scratch_load_b64 v[10:11], off, off offset:624 th:TH_LOAD_LU
	scratch_load_b64 v[14:15], off, off offset:632 th:TH_LOAD_LU
	scratch_load_b64 v[16:17], off, off offset:656 th:TH_LOAD_LU
	scratch_load_b64 v[62:63], off, off offset:672 th:TH_LOAD_LU
	v_mul_f64_e32 v[20:21], v[52:53], v[20:21]
	scratch_store_b64 off, v[8:9], off offset:96 ; 8-byte Folded Spill
	s_wait_xcnt 0x0
	v_add_f64_e64 v[8:9], v[12:13], -v[28:29]
	scratch_load_b64 v[28:29], off, off offset:608 th:TH_LOAD_LU ; 8-byte Folded Reload
	v_mul_f64_e32 v[20:21], v[4:5], v[20:21]
	s_clause 0x1
	scratch_store_b64 off, v[8:9], off offset:104
	scratch_load_b64 v[8:9], off, off offset:392 th:TH_LOAD_LU
	s_wait_loadcnt 0x4
	v_fma_f64 v[22:23], 2.0, v[10:11], v[14:15]
	s_wait_loadcnt 0x2
	v_fma_f64 v[38:39], v[62:63], v[62:63], v[20:21]
	v_mul_f64_e32 v[50:51], v[62:63], v[62:63]
	s_delay_alu instid0(VALU_DEP_3) | instskip(NEXT) | instid1(VALU_DEP_3)
	v_mul_f64_e32 v[24:25], v[22:23], v[16:17]
	v_mul_f64_e32 v[38:39], v[10:11], v[38:39]
	s_delay_alu instid0(VALU_DEP_2) | instskip(NEXT) | instid1(VALU_DEP_1)
	v_mul_f64_e32 v[24:25], v[0:1], v[24:25]
	v_mul_f64_e32 v[24:25], v[16:17], v[24:25]
	s_delay_alu instid0(VALU_DEP_1) | instskip(SKIP_1) | instid1(VALU_DEP_1)
	v_fmac_f64_e32 v[38:39], v[0:1], v[24:25]
	v_mul_f64_e32 v[24:25], v[0:1], v[16:17]
	v_mul_f64_e32 v[24:25], v[16:17], v[24:25]
	s_delay_alu instid0(VALU_DEP_1) | instskip(SKIP_2) | instid1(VALU_DEP_3)
	v_fmac_f64_e32 v[50:51], v[0:1], v[24:25]
	v_fmac_f64_e32 v[20:21], v[0:1], v[24:25]
	v_mul_f64_e32 v[24:25], v[22:23], v[52:53]
	v_mul_f64_e32 v[50:51], v[10:11], v[50:51]
	s_delay_alu instid0(VALU_DEP_3) | instskip(NEXT) | instid1(VALU_DEP_3)
	v_mul_f64_e32 v[60:61], v[10:11], v[20:21]
	v_mul_f64_e32 v[24:25], v[4:5], v[24:25]
	;; [unrolled: 1-line block ×3, first 2 shown]
	s_delay_alu instid0(VALU_DEP_2) | instskip(NEXT) | instid1(VALU_DEP_2)
	v_mul_f64_e32 v[24:25], v[52:53], v[24:25]
	v_fmac_f64_e32 v[60:61], v[62:63], v[20:21]
	s_delay_alu instid0(VALU_DEP_2)
	v_fmac_f64_e32 v[50:51], v[4:5], v[24:25]
	v_add_f64_e32 v[24:25], v[10:11], v[14:15]
	s_clause 0x1
	scratch_load_b64 v[10:11], off, off offset:616 th:TH_LOAD_LU
	scratch_load_b64 v[14:15], off, off offset:856 th:TH_LOAD_LU
	s_wait_loadcnt 0x1
	v_mul_f64_e32 v[20:21], v[10:11], v[24:25]
	v_mul_f64_e32 v[12:13], v[10:11], v[60:61]
	s_delay_alu instid0(VALU_DEP_2)
	v_mul_f64_e32 v[22:23], v[16:17], v[20:21]
	v_mul_f64_e32 v[20:21], v[20:21], v[52:53]
	scratch_load_b64 v[16:17], off, off offset:408 th:TH_LOAD_LU ; 8-byte Folded Reload
	v_mul_f64_e32 v[68:69], v[52:53], v[22:23]
	v_mul_f64_e32 v[72:73], v[20:21], v[62:63]
	s_wait_loadcnt 0x1
	v_mul_f64_e32 v[20:21], v[56:57], v[14:15]
	scratch_load_b64 v[14:15], off, off offset:848 th:TH_LOAD_LU ; 8-byte Folded Reload
	v_mul_f64_e32 v[70:71], v[22:23], v[62:63]
	scratch_load_b64 v[52:53], off, off offset:288 ; 8-byte Folded Reload
	v_mul_f64_e32 v[20:21], v[4:5], v[20:21]
	s_wait_loadcnt 0x1
	v_mul_f64_e32 v[22:23], v[2:3], v[14:15]
	scratch_load_b64 v[14:15], off, off offset:416 th:TH_LOAD_LU ; 8-byte Folded Reload
	v_fmac_f64_e32 v[20:21], v[114:115], v[22:23]
	s_wait_loadcnt 0x0
	v_mul_f64_e32 v[22:23], 0x3fb5555555555555, v[14:15]
	scratch_load_b64 v[14:15], off, off offset:456 th:TH_LOAD_LU ; 8-byte Folded Reload
	s_wait_loadcnt 0x0
	v_fma_f64 v[14:15], v[14:15], s[12:13], -v[22:23]
	s_clause 0x1
	scratch_store_b64 off, v[14:15], off offset:64
	scratch_load_b64 v[14:15], off, off offset:832 th:TH_LOAD_LU
	s_wait_loadcnt 0x0
	v_fmac_f64_e32 v[20:21], v[104:105], v[14:15]
	scratch_load_b64 v[14:15], off, off offset:840 th:TH_LOAD_LU ; 8-byte Folded Reload
	s_wait_loadcnt 0x0
	v_mul_f64_e32 v[22:23], v[56:57], v[14:15]
	v_mul_f64_e32 v[56:57], v[104:105], v[14:15]
	scratch_load_b64 v[14:15], off, off offset:472 th:TH_LOAD_LU ; 8-byte Folded Reload
	v_mul_f64_e32 v[22:23], v[2:3], v[22:23]
	s_delay_alu instid0(VALU_DEP_1) | instskip(NEXT) | instid1(VALU_DEP_1)
	v_mul_f64_e32 v[24:25], v[108:109], v[22:23]
	v_fmac_f64_e32 v[24:25], v[114:115], v[16:17]
	scratch_load_b64 v[16:17], off, off offset:424 th:TH_LOAD_LU ; 8-byte Folded Reload
	s_wait_loadcnt 0x1
	v_mul_f64_e32 v[22:23], 0x3fb5555555555555, v[14:15]
	scratch_load_b64 v[14:15], off, off offset:480 th:TH_LOAD_LU ; 8-byte Folded Reload
	s_wait_loadcnt 0x1
	v_mul_f64_e32 v[122:123], v[114:115], v[16:17]
	s_delay_alu instid0(VALU_DEP_1)
	v_fmac_f64_e32 v[122:123], v[2:3], v[56:57]
	v_mul_f64_e32 v[2:3], v[10:11], v[50:51]
	s_wait_loadcnt 0x0
	v_fma_f64 v[14:15], v[14:15], s[12:13], -v[22:23]
	v_add_f64_e64 v[22:23], v[18:19], -v[8:9]
	v_mul_f64_e32 v[8:9], v[10:11], v[38:39]
	s_clause 0x2
	scratch_load_b64 v[10:11], off, off offset:224 th:TH_LOAD_LU
	scratch_store_b64 off, v[14:15], off offset:72
	scratch_load_b64 v[14:15], off, off offset:648 th:TH_LOAD_LU
	s_wait_loadcnt 0x1
	v_mul_f64_e32 v[2:3], v[10:11], v[2:3]
	v_mul_f64_e32 v[8:9], v[10:11], v[8:9]
	s_wait_loadcnt 0x0
	s_delay_alu instid0(VALU_DEP_2)
	v_mul_f64_e32 v[36:37], v[14:15], v[2:3]
	scratch_load_b64 v[2:3], off, off offset:640 th:TH_LOAD_LU ; 8-byte Folded Reload
	s_wait_loadcnt 0x0
	v_mul_f64_e32 v[42:43], v[2:3], v[8:9]
	v_fmac_f64_e32 v[36:37], v[68:69], v[2:3]
	v_mul_f64_e32 v[8:9], v[52:53], v[72:73]
	s_delay_alu instid0(VALU_DEP_3) | instskip(NEXT) | instid1(VALU_DEP_2)
	v_fmac_f64_e32 v[42:43], v[68:69], v[14:15]
	v_mul_f64_e32 v[18:19], v[8:9], v[14:15]
	s_delay_alu instid0(VALU_DEP_4) | instskip(SKIP_1) | instid1(VALU_DEP_2)
	v_fmac_f64_e32 v[36:37], v[8:9], v[28:29]
	v_mul_f64_e32 v[8:9], v[108:109], v[70:71]
	v_add_f64_e32 v[114:115], v[112:113], v[36:37]
	s_delay_alu instid0(VALU_DEP_2)
	v_fmac_f64_e32 v[18:19], v[2:3], v[8:9]
	v_mul_f64_e32 v[2:3], v[10:11], v[12:13]
	v_fmac_f64_e32 v[42:43], v[8:9], v[28:29]
	s_clause 0x1
	scratch_store_b64 off, v[2:3], off offset:112
	scratch_load_b64 v[2:3], off, off offset:584 th:TH_LOAD_LU
	s_wait_loadcnt 0x0
	v_lshl_add_u64 v[8:9], v[2:3], 3, s[10:11]
	scratch_load_b64 v[2:3], off, off offset:552 th:TH_LOAD_LU ; 8-byte Folded Reload
	s_wait_loadcnt 0x0
	v_lshl_add_u64 v[12:13], v[2:3], 3, s[10:11]
	s_clause 0x1
	global_load_b64 v[8:9], v[8:9], off
	global_load_b64 v[12:13], v[12:13], off
	s_clause 0x2
	scratch_load_b64 v[2:3], off, off offset:568 th:TH_LOAD_LU
	scratch_load_b32 v10, off, off offset:384 th:TH_LOAD_LU
	scratch_load_b32 v11, off, off offset:348 th:TH_LOAD_LU
	s_wait_loadcnt 0x2
	v_lshl_add_u64 v[38:39], v[2:3], 3, s[10:11]
	scratch_load_b64 v[2:3], off, off offset:544 th:TH_LOAD_LU ; 8-byte Folded Reload
	s_wait_loadcnt 0x1
	v_dual_add_nc_u32 v10, s14, v10 :: v_dual_add_nc_u32 v11, s14, v11
	s_wait_loadcnt 0x0
	v_lshl_add_u64 v[44:45], v[2:3], 3, s[10:11]
	s_clause 0x1
	scratch_load_b32 v2, off, off offset:388 th:TH_LOAD_LU
	scratch_load_b32 v3, off, off offset:336 th:TH_LOAD_LU
	s_clause 0x1
	global_load_b64 v[38:39], v[38:39], off
	global_load_b64 v[44:45], v[44:45], off
	scratch_load_b64 v[14:15], off, off offset:528 th:TH_LOAD_LU ; 8-byte Folded Reload
	s_wait_loadcnt 0x3
	v_dual_add_nc_u32 v2, s14, v2 :: v_dual_add_nc_u32 v3, s14, v3
	s_wait_loadcnt 0x0
	v_mul_f64_e32 v[50:51], v[14:15], v[8:9]
	scratch_load_b64 v[14:15], off, off offset:328 th:TH_LOAD_LU ; 8-byte Folded Reload
	s_wait_loadcnt 0x0
	v_mul_f64_e32 v[112:113], v[14:15], v[8:9]
	scratch_load_b64 v[8:9], off, off offset:40 th:TH_LOAD_LU ; 8-byte Folded Reload
	s_clause 0x3
	global_load_b64 v[60:61], v2, s[10:11] scale_offset
	global_load_b64 v[68:69], v3, s[10:11] scale_offset
	;; [unrolled: 1-line block ×4, first 2 shown]
	scratch_load_b64 v[2:3], off, off offset:512 th:TH_LOAD_LU ; 8-byte Folded Reload
	v_mul_f64_e32 v[56:57], v[14:15], v[12:13]
	s_wait_loadcnt 0x5
	v_mul_f64_e32 v[12:13], v[8:9], v[12:13]
	s_wait_loadcnt 0x4
	v_mul_f64_e32 v[74:75], v[8:9], v[60:61]
	v_mul_f64_e32 v[60:61], v[14:15], v[60:61]
	s_wait_loadcnt 0x0
	v_mul_f64_e32 v[14:15], v[2:3], v[38:39]
	s_clause 0x1
	scratch_load_b64 v[2:3], off, off offset:256 th:TH_LOAD_LU
	scratch_load_b64 v[8:9], off, off offset:32 th:TH_LOAD_LU
	s_wait_loadcnt 0x1
	v_mul_f64_e32 v[38:39], v[2:3], v[38:39]
	v_mul_f64_e32 v[40:41], v[2:3], v[44:45]
	s_wait_loadcnt 0x0
	v_mul_f64_e32 v[88:89], v[8:9], v[68:69]
	v_mul_f64_e32 v[68:69], v[2:3], v[68:69]
	scratch_load_b64 v[2:3], off, off offset:576 th:TH_LOAD_LU ; 8-byte Folded Reload
	v_mul_f64_e32 v[44:45], v[8:9], v[44:45]
	s_wait_loadcnt 0x0
	v_lshl_add_u64 v[90:91], v[2:3], 3, s[10:11]
	scratch_load_b64 v[2:3], off, off offset:536 th:TH_LOAD_LU ; 8-byte Folded Reload
	s_wait_loadcnt 0x0
	v_lshl_add_u64 v[94:95], v[2:3], 3, s[10:11]
	global_load_b64 v[90:91], v[90:91], off
	scratch_load_b64 v[2:3], off, off offset:560 th:TH_LOAD_LU ; 8-byte Folded Reload
	s_wait_loadcnt 0x0
	v_lshl_add_u64 v[98:99], v[2:3], 3, s[10:11]
	global_load_b64 v[94:95], v[94:95], off
	scratch_load_b64 v[2:3], off, off offset:520 th:TH_LOAD_LU ; 8-byte Folded Reload
	s_wait_loadcnt 0x0
	v_lshl_add_u64 v[100:101], v[2:3], 3, s[10:11]
	s_clause 0x1
	global_load_b64 v[98:99], v[98:99], off
	global_load_b64 v[100:101], v[100:101], off
	s_clause 0x2
	scratch_load_b64 v[2:3], off, off offset:504 th:TH_LOAD_LU
	scratch_load_b64 v[8:9], off, off offset:24 th:TH_LOAD_LU
	;; [unrolled: 1-line block ×3, first 2 shown]
	s_wait_loadcnt 0x2
	v_mul_f64_e32 v[102:103], v[2:3], v[90:91]
	scratch_load_b64 v[2:3], off, off offset:296 th:TH_LOAD_LU ; 8-byte Folded Reload
	s_wait_loadcnt 0x2
	v_mul_f64_e32 v[106:107], v[8:9], v[70:71]
	s_wait_loadcnt 0x0
	s_wait_xcnt 0x9
	v_mul_f64_e32 v[90:91], v[2:3], v[90:91]
	v_mul_f64_e32 v[104:105], v[2:3], v[94:95]
	;; [unrolled: 1-line block ×3, first 2 shown]
	scratch_load_b64 v[2:3], off, off offset:496 th:TH_LOAD_LU ; 8-byte Folded Reload
	s_wait_xcnt 0x8
	v_mul_f64_e32 v[94:95], v[8:9], v[94:95]
	s_wait_loadcnt 0x0
	v_mul_f64_e32 v[118:119], v[2:3], v[98:99]
	scratch_load_b64 v[2:3], off, off offset:264 th:TH_LOAD_LU ; 8-byte Folded Reload
	s_wait_loadcnt 0x0
	s_wait_xcnt 0x7
	v_mul_f64_e32 v[98:99], v[2:3], v[98:99]
	v_mul_f64_e32 v[8:9], v[2:3], v[100:101]
	s_wait_xcnt 0x6
	v_mul_f64_e32 v[100:101], v[10:11], v[100:101]
	v_mul_f64_e32 v[10:11], v[10:11], v[72:73]
	v_mul_f64_e32 v[72:73], v[2:3], v[72:73]
	scratch_load_b64 v[2:3], off, off offset:360 th:TH_LOAD_LU ; 8-byte Folded Reload
	s_wait_loadcnt 0x0
	v_add_f64_e32 v[36:37], v[2:3], v[42:43]
	scratch_load_b64 v[42:43], off, off offset:8 th:TH_LOAD_LU ; 8-byte Folded Reload
	s_wait_loadcnt 0x0
	v_mul_f64_e32 v[50:51], v[42:43], v[50:51]
	v_mul_f64_e32 v[2:3], v[42:43], v[112:113]
	;; [unrolled: 1-line block ×6, first 2 shown]
	scratch_load_b64 v[42:43], off, off offset:80 th:TH_LOAD_LU ; 8-byte Folded Reload
	s_wait_loadcnt 0x0
	v_mul_f64_e32 v[112:113], v[42:43], v[40:41]
	scratch_load_b64 v[40:41], off, off th:TH_LOAD_LU ; 8-byte Folded Reload
	v_mul_f64_e32 v[84:85], v[42:43], v[44:45]
	v_mul_f64_e32 v[38:39], v[42:43], v[38:39]
	;; [unrolled: 1-line block ×6, first 2 shown]
	s_wait_loadcnt 0x0
	v_mul_f64_e32 v[90:91], v[40:41], v[90:91]
	v_mul_f64_e32 v[44:45], v[40:41], v[104:105]
	;; [unrolled: 1-line block ×6, first 2 shown]
	scratch_load_b64 v[40:41], off, off offset:88 th:TH_LOAD_LU ; 8-byte Folded Reload
	v_mul_f64_e32 v[60:61], v[76:77], v[90:91]
	s_delay_alu instid0(VALU_DEP_1) | instskip(NEXT) | instid1(VALU_DEP_1)
	v_mul_f64_e32 v[60:61], v[6:7], v[60:61]
	v_mul_f64_e32 v[60:61], v[52:53], v[60:61]
	s_delay_alu instid0(VALU_DEP_1)
	v_fmac_f64_e32 v[60:61], v[54:55], v[44:45]
	s_wait_loadcnt 0x0
	v_mul_f64_e32 v[104:105], v[40:41], v[98:99]
	v_mul_f64_e32 v[98:99], v[40:41], v[8:9]
	;; [unrolled: 1-line block ×5, first 2 shown]
	scratch_load_b64 v[72:73], off, off offset:208 th:TH_LOAD_LU ; 8-byte Folded Reload
	v_mul_f64_e32 v[106:107], v[40:41], v[10:11]
	scratch_load_b128 v[40:43], off, off offset:184 th:TH_LOAD_LU ; 16-byte Folded Reload
	v_mul_f64_e32 v[10:11], v[116:117], v[50:51]
	v_mul_f64_e32 v[50:51], v[82:83], v[78:79]
	;; [unrolled: 1-line block ×4, first 2 shown]
	s_wait_loadcnt 0x1
	s_delay_alu instid0(VALU_DEP_4) | instskip(SKIP_1) | instid1(VALU_DEP_4)
	v_mul_f64_e32 v[10:11], v[72:73], v[10:11]
	s_wait_loadcnt 0x0
	v_mul_f64_e32 v[50:51], v[40:41], v[50:51]
	s_delay_alu instid0(VALU_DEP_3) | instskip(NEXT) | instid1(VALU_DEP_3)
	v_mul_f64_e32 v[88:89], v[42:43], v[88:89]
	v_mul_f64_e32 v[62:63], v[52:53], v[10:11]
	;; [unrolled: 1-line block ×4, first 2 shown]
	s_delay_alu instid0(VALU_DEP_3)
	v_fmac_f64_e32 v[62:63], v[92:93], v[12:13]
	v_mul_f64_e32 v[12:13], v[92:93], v[2:3]
	v_mul_f64_e32 v[2:3], v[58:59], v[2:3]
	;; [unrolled: 1-line block ×5, first 2 shown]
	v_fmac_f64_e32 v[62:63], v[52:53], v[10:11]
	scratch_load_b64 v[10:11], off, off offset:232 th:TH_LOAD_LU ; 8-byte Folded Reload
	v_fmac_f64_e32 v[68:69], v[72:73], v[2:3]
	v_mul_f64_e32 v[2:3], v[72:73], v[12:13]
	v_mul_f64_e32 v[12:13], v[54:55], v[94:95]
	v_fmac_f64_e32 v[58:59], v[86:87], v[84:85]
	v_mul_f64_e32 v[86:87], v[120:121], v[90:91]
	v_mul_f64_e32 v[90:91], v[40:41], v[92:93]
	;; [unrolled: 1-line block ×6, first 2 shown]
	v_add_f64_e64 v[14:15], v[24:25], -v[124:125]
	scratch_load_b64 v[24:25], off, off offset:104 th:TH_LOAD_LU ; 8-byte Folded Reload
	v_mul_f64_e32 v[96:97], v[52:53], v[88:89]
	v_mul_f64_e32 v[94:95], v[66:67], v[118:119]
	;; [unrolled: 1-line block ×4, first 2 shown]
	scratch_load_b64 v[2:3], off, off offset:304 th:TH_LOAD_LU ; 8-byte Folded Reload
	v_mul_f64_e32 v[102:103], v[52:53], v[90:91]
	v_fmac_f64_e32 v[58:59], v[52:53], v[78:79]
	v_mul_f64_e32 v[38:39], v[42:43], v[38:39]
	v_fmac_f64_e32 v[100:101], v[40:41], v[84:85]
	scratch_load_b64 v[40:41], off, off offset:112 th:TH_LOAD_LU ; 8-byte Folded Reload
	v_fmac_f64_e32 v[96:97], v[66:67], v[98:99]
	v_fmac_f64_e32 v[94:95], v[42:43], v[50:51]
	v_mul_f64_e32 v[90:91], v[52:53], v[92:93]
	v_fmac_f64_e32 v[12:13], v[116:117], v[16:17]
	scratch_load_b64 v[16:17], off, off offset:48 th:TH_LOAD_LU ; 8-byte Folded Reload
	v_fmac_f64_e32 v[102:103], v[82:83], v[112:113]
	v_mul_f64_e32 v[92:93], v[52:53], v[38:39]
	v_mul_f64_e32 v[38:39], v[54:55], v[70:71]
	v_add_f64_e64 v[42:43], v[68:69], -v[100:101]
	v_fmac_f64_e32 v[90:91], v[76:77], v[56:57]
	s_delay_alu instid0(VALU_DEP_4)
	v_fmac_f64_e32 v[92:93], v[80:81], v[8:9]
	v_mul_f64_e32 v[8:9], 0x3fb5555555555555, v[22:23]
	scratch_load_b64 v[22:23], off, off offset:96 th:TH_LOAD_LU ; 8-byte Folded Reload
	v_fmac_f64_e32 v[38:39], v[6:7], v[86:87]
	v_add_f64_e64 v[6:7], v[12:13], -v[102:103]
	v_add_f64_e64 v[12:13], v[62:63], -v[58:59]
	v_fmac_f64_e32 v[90:91], v[52:53], v[72:73]
	v_fmac_f64_e32 v[92:93], v[52:53], v[74:75]
	s_delay_alu instid0(VALU_DEP_4) | instskip(NEXT) | instid1(VALU_DEP_4)
	v_mul_f64_e32 v[6:7], 0x3fb5555555555555, v[6:7]
	v_mul_f64_e32 v[12:13], 0x3fb5555555555555, v[12:13]
	s_wait_loadcnt 0x5
	v_add_f64_e64 v[10:11], v[20:21], -v[10:11]
	scratch_load_b64 v[20:21], off, off offset:56 th:TH_LOAD_LU ; 8-byte Folded Reload
	s_wait_loadcnt 0x5
	v_mul_f64_e32 v[24:25], 0x3fb5555555555555, v[24:25]
	s_wait_loadcnt 0x4
	v_mul_f64_e32 v[104:105], 0x3fb5555555555555, v[2:3]
	scratch_load_b64 v[2:3], off, off offset:216 th:TH_LOAD_LU ; 8-byte Folded Reload
	s_wait_loadcnt 0x4
	v_fmac_f64_e32 v[18:19], v[28:29], v[40:41]
	s_clause 0x1
	scratch_load_b64 v[28:29], off, off offset:72 th:TH_LOAD_LU
	scratch_load_b64 v[40:41], off, off offset:64 th:TH_LOAD_LU
	v_fma_f64 v[14:15], v[14:15], s[12:13], -v[24:25]
	v_add_f64_e64 v[24:25], v[90:91], -v[92:93]
	s_wait_loadcnt 0x5
	v_fma_f64 v[16:17], v[16:17], s[12:13], -v[104:105]
	s_wait_loadcnt 0x4
	v_mul_f64_e32 v[22:23], 0x3fb5555555555555, v[22:23]
	s_delay_alu instid0(VALU_DEP_1) | instskip(SKIP_1) | instid1(VALU_DEP_1)
	v_fma_f64 v[10:11], v[10:11], s[12:13], -v[22:23]
	v_add_f64_e64 v[22:23], v[60:61], -v[96:97]
	v_fma_f64 v[6:7], v[22:23], s[12:13], -v[6:7]
	s_wait_loadcnt 0x2
	v_mul_f64_e32 v[106:107], 0x3fb5555555555555, v[2:3]
	scratch_load_b64 v[2:3], off, off offset:272 th:TH_LOAD_LU ; 8-byte Folded Reload
	s_wait_loadcnt 0x2
	v_add_f64_e32 v[28:29], v[114:115], v[28:29]
	s_wait_loadcnt 0x1
	v_add_f64_e32 v[36:37], v[36:37], v[40:41]
	v_fma_f64 v[20:21], v[20:21], s[12:13], -v[106:107]
	s_delay_alu instid0(VALU_DEP_2) | instskip(NEXT) | instid1(VALU_DEP_1)
	v_add_f64_e32 v[16:17], v[16:17], v[36:37]
	v_fmac_f64_e32 v[16:17], v[108:109], v[10:11]
	v_fma_f64 v[10:11], v[24:25], s[12:13], -v[12:13]
	s_delay_alu instid0(VALU_DEP_2) | instskip(SKIP_3) | instid1(VALU_DEP_1)
	v_add_f64_e32 v[16:17], v[16:17], v[6:7]
	scratch_load_b32 v6, off, off offset:596 th:TH_LOAD_LU ; 4-byte Folded Reload
	s_wait_loadcnt 0x1
	v_add_f64_e64 v[2:3], v[122:123], -v[2:3]
	v_fma_f64 v[8:9], v[2:3], s[12:13], -v[8:9]
	v_add_f64_e32 v[2:3], v[48:49], v[18:19]
	v_add_f64_e32 v[18:19], v[20:21], v[28:29]
	v_add_f64_e64 v[20:21], v[38:39], -v[94:95]
	v_mul_f64_e32 v[28:29], 0x3fb5555555555555, v[42:43]
	s_delay_alu instid0(VALU_DEP_4) | instskip(NEXT) | instid1(VALU_DEP_4)
	v_fmac_f64_e32 v[2:3], v[108:109], v[8:9]
	v_add_f64_e32 v[8:9], v[18:19], v[14:15]
	s_delay_alu instid0(VALU_DEP_3) | instskip(NEXT) | instid1(VALU_DEP_2)
	v_fma_f64 v[12:13], v[20:21], s[12:13], -v[28:29]
	v_add_f64_e32 v[14:15], v[8:9], v[10:11]
	s_delay_alu instid0(VALU_DEP_2)
	v_fmac_f64_e32 v[2:3], v[52:53], v[12:13]
	s_wait_loadcnt 0x0
	v_subrev_nc_u32_e32 v28, s18, v6
	scratch_load_b32 v6, off, off offset:600 th:TH_LOAD_LU ; 4-byte Folded Reload
	s_wait_loadcnt 0x0
	v_subrev_nc_u32_e32 v29, s18, v6
	scratch_load_b32 v6, off, off offset:604 th:TH_LOAD_LU ; 4-byte Folded Reload
	;; [unrolled: 3-line block ×3, first 2 shown]
	s_wait_loadcnt 0x0
	v_subrev_nc_u32_e32 v36, s18, v6
.LBB4_11:                               ; =>This Inner Loop Header: Depth=1
	s_delay_alu instid0(VALU_DEP_1) | instskip(SKIP_2) | instid1(VALU_DEP_3)
	v_dual_add_nc_u32 v22, s33, v36 :: v_dual_add_nc_u32 v48, s33, v33
	v_dual_add_nc_u32 v37, s33, v30 :: v_dual_add_nc_u32 v66, s33, v31
	v_add_nc_u32_e32 v70, s33, v34
	v_dual_ashrrev_i32 v23, 31, v22 :: v_dual_add_nc_u32 v50, s33, v28
	s_delay_alu instid0(VALU_DEP_4) | instskip(SKIP_1) | instid1(VALU_DEP_3)
	v_dual_ashrrev_i32 v49, 31, v48 :: v_dual_add_nc_u32 v68, s33, v47
	v_add_nc_u32_e32 v72, s33, v46
	v_lshl_add_u64 v[18:19], v[22:23], 3, s[4:5]
	s_delay_alu instid0(VALU_DEP_4)
	v_dual_ashrrev_i32 v51, 31, v50 :: v_dual_add_nc_u32 v78, s33, v35
	v_dual_add_nc_u32 v80, s33, v26 :: v_dual_add_nc_u32 v82, s33, v64
	v_add_nc_u32_e32 v84, s33, v27
	s_clause 0x1
	global_load_b128 v[6:9], v[18:19], off offset:8
	global_load_b128 v[10:13], v[18:19], off offset:-16
	s_clause 0x1
	global_load_b64 v[24:25], v48, s[6:7] scale_offset
	global_load_b64 v[18:19], v48, s[8:9] scale_offset
	;; [unrolled: 1-line block ×3, first 2 shown]
	s_wait_xcnt 0x0
	v_lshl_add_u64 v[22:23], v[48:49], 3, s[4:5]
	v_lshl_add_u64 v[58:59], v[50:51], 3, s[4:5]
	s_clause 0x3
	global_load_b128 v[38:41], v[22:23], off offset:8
	global_load_b128 v[42:45], v[22:23], off offset:-16
	global_load_b128 v[54:57], v[58:59], off offset:8
	global_load_b128 v[58:61], v[58:59], off offset:-16
	global_load_b64 v[22:23], v48, s[10:11] scale_offset
	v_add_nc_u32_e32 v51, s33, v32
	s_clause 0x5
	global_load_b64 v[48:49], v37, s[4:5] scale_offset
	global_load_b64 v[62:63], v51, s[4:5] scale_offset
	;; [unrolled: 1-line block ×7, first 2 shown]
	v_dual_add_nc_u32 v37, s33, v29 :: v_dual_add_nc_u32 v76, s33, v127
	v_add_nc_u32_e32 v86, s33, v65
	s_add_co_i32 s28, s28, 1
	v_add_nc_u32_e32 v35, s35, v35
	v_dual_add_nc_u32 v127, s35, v127 :: v_dual_add_nc_u32 v26, s35, v26
	s_cmp_ge_i32 s28, s34
	v_dual_add_nc_u32 v64, s35, v64 :: v_dual_add_nc_u32 v27, s35, v27
	v_dual_add_nc_u32 v65, s35, v65 :: v_dual_add_nc_u32 v47, s35, v47
	;; [unrolled: 1-line block ×6, first 2 shown]
	v_add_nc_u32_e32 v34, s35, v34
	s_wait_loadcnt 0xf
	v_add_f64_e64 v[8:9], v[8:9], -v[10:11]
	global_load_b64 v[74:75], v37, s[10:11] scale_offset
	s_clause 0x5
	global_load_b64 v[76:77], v76, s[4:5] scale_offset
	global_load_b64 v[78:79], v78, s[4:5] scale_offset
	;; [unrolled: 1-line block ×7, first 2 shown]
	s_wait_loadcnt 0x15
	v_fma_f64 v[10:11], 2.0, v[24:25], v[18:19]
	s_wait_loadcnt 0x14
	v_mul_f64_e32 v[90:91], v[24:25], v[20:21]
	s_wait_loadcnt 0x12
	v_add_f64_e64 v[40:41], v[40:41], -v[42:43]
	v_add_f64_e64 v[6:7], v[6:7], -v[12:13]
	s_wait_loadcnt 0x10
	v_add_f64_e64 v[12:13], v[56:57], -v[58:59]
	v_add_f64_e64 v[38:39], v[38:39], -v[44:45]
	s_wait_xcnt 0x0
	v_dual_add_f64 v[42:43], v[54:55], -v[60:61] :: v_dual_add_nc_u32 v126, -6, v126
	s_wait_loadcnt 0x9
	v_add_f64_e64 v[56:57], v[70:71], -v[72:73]
	s_wait_loadcnt 0x8
	v_mul_f64_e32 v[58:59], v[24:25], v[50:51]
	v_mul_f64_e32 v[8:9], 0x3fb5555555555555, v[8:9]
	;; [unrolled: 1-line block ×7, first 2 shown]
	v_fma_f64 v[6:7], v[6:7], s[12:13], -v[8:9]
	v_add_f64_e64 v[8:9], v[48:49], -v[62:63]
	v_add_f64_e64 v[48:49], v[66:67], -v[68:69]
	v_mul_f64_e32 v[44:45], v[44:45], v[22:23]
	v_fma_f64 v[38:39], v[38:39], s[12:13], -v[40:41]
	v_mul_f64_e32 v[62:63], v[18:19], v[50:51]
	v_fma_f64 v[12:13], v[42:43], s[12:13], -v[12:13]
	v_mul_f64_e32 v[50:51], 0x3fb5555555555555, v[56:57]
	v_mul_f64_e32 v[56:57], v[22:23], v[58:59]
	;; [unrolled: 1-line block ×12, first 2 shown]
	s_delay_alu instid0(VALU_DEP_2) | instskip(NEXT) | instid1(VALU_DEP_2)
	v_mul_f64_e32 v[40:41], v[108:109], v[40:41]
	v_fmac_f64_e32 v[6:7], v[108:109], v[44:45]
	s_delay_alu instid0(VALU_DEP_2)
	v_fmac_f64_e32 v[40:41], v[62:63], v[38:39]
	s_wait_loadcnt 0x7
	v_mul_f64_e32 v[24:25], v[24:25], v[74:75]
	v_mul_f64_e32 v[68:69], v[18:19], v[74:75]
	s_wait_loadcnt 0x5
	v_add_f64_e64 v[42:43], v[76:77], -v[78:79]
	v_mul_f64_e32 v[18:19], v[18:19], v[20:21]
	s_wait_loadcnt 0x3
	v_add_f64_e64 v[60:61], v[80:81], -v[82:83]
	s_wait_loadcnt 0x1
	v_add_f64_e64 v[66:67], v[84:85], -v[86:87]
	v_mul_f64_e32 v[24:25], v[22:23], v[24:25]
	v_mul_f64_e32 v[68:69], v[22:23], v[68:69]
	v_fma_f64 v[8:9], v[42:43], s[12:13], -v[8:9]
	v_fma_f64 v[42:43], v[60:61], s[12:13], -v[48:49]
	;; [unrolled: 1-line block ×3, first 2 shown]
	v_mul_f64_e32 v[50:51], v[0:1], v[58:59]
	v_mul_f64_e32 v[12:13], v[24:25], v[12:13]
	;; [unrolled: 1-line block ×4, first 2 shown]
	v_fmac_f64_e32 v[40:41], v[54:55], v[8:9]
	v_mul_f64_e32 v[10:11], v[10:11], v[42:43]
	v_mul_f64_e32 v[8:9], v[18:19], v[22:23]
	;; [unrolled: 1-line block ×5, first 2 shown]
	v_fmac_f64_e32 v[6:7], v[108:109], v[12:13]
	v_mul_f64_e32 v[12:13], v[24:25], v[48:49]
	v_mul_f64_e32 v[20:21], v[4:5], v[58:59]
	;; [unrolled: 1-line block ×4, first 2 shown]
	v_fmac_f64_e32 v[44:45], v[108:109], v[60:61]
	s_delay_alu instid0(VALU_DEP_4) | instskip(NEXT) | instid1(VALU_DEP_4)
	v_fmac_f64_e32 v[6:7], v[52:53], v[20:21]
	v_fmac_f64_e32 v[40:41], v[52:53], v[10:11]
	s_delay_alu instid0(VALU_DEP_3) | instskip(NEXT) | instid1(VALU_DEP_3)
	v_fmac_f64_e32 v[44:45], v[52:53], v[38:39]
	v_fmac_f64_e32 v[6:7], v[8:9], v[42:43]
	s_delay_alu instid0(VALU_DEP_3) | instskip(NEXT) | instid1(VALU_DEP_3)
	v_fmac_f64_e32 v[40:41], v[52:53], v[12:13]
	v_fmac_f64_e32 v[44:45], v[52:53], v[18:19]
	s_wait_loadcnt 0x0
	s_delay_alu instid0(VALU_DEP_3) | instskip(NEXT) | instid1(VALU_DEP_3)
	v_fma_f64 v[16:17], -v[88:89], v[6:7], v[16:17]
	v_fma_f64 v[14:15], -v[88:89], v[40:41], v[14:15]
	s_delay_alu instid0(VALU_DEP_3)
	v_fma_f64 v[2:3], -v[88:89], v[44:45], v[2:3]
	s_cbranch_scc0 .LBB4_11
; %bb.12:
	v_mul_f64_e32 v[0:1], v[0:1], v[4:5]
	scratch_load_b64 v[4:5], off, off offset:200 th:TH_LOAD_LU ; 8-byte Folded Reload
	s_load_b128 s[4:7], s[0:1], 0x38
	s_wait_kmcnt 0x0
	v_mul_f64_e32 v[2:3], s[6:7], v[2:3]
	s_wait_loadcnt 0x0
	v_lshl_add_u64 v[4:5], v[4:5], 3, s[30:31]
	global_load_b64 v[6:7], v[4:5], off
	scratch_load_b64 v[20:21], off, off offset:168 th:TH_LOAD_LU ; 8-byte Folded Reload
	s_wait_loadcnt 0x1
	v_mul_f64_e32 v[6:7], s[4:5], v[6:7]
	s_wait_loadcnt 0x0
	v_div_scale_f64 v[8:9], null, v[20:21], v[20:21], v[0:1]
	v_div_scale_f64 v[18:19], vcc_lo, v[0:1], v[20:21], v[0:1]
	s_delay_alu instid0(VALU_DEP_2) | instskip(SKIP_1) | instid1(TRANS32_DEP_1)
	v_rcp_f64_e32 v[10:11], v[8:9]
	v_nop
	v_fma_f64 v[12:13], -v[8:9], v[10:11], 1.0
	s_delay_alu instid0(VALU_DEP_1) | instskip(NEXT) | instid1(VALU_DEP_1)
	v_fmac_f64_e32 v[10:11], v[10:11], v[12:13]
	v_fma_f64 v[12:13], -v[8:9], v[10:11], 1.0
	s_delay_alu instid0(VALU_DEP_1) | instskip(NEXT) | instid1(VALU_DEP_1)
	v_fmac_f64_e32 v[10:11], v[10:11], v[12:13]
	v_mul_f64_e32 v[12:13], v[18:19], v[10:11]
	s_delay_alu instid0(VALU_DEP_1) | instskip(NEXT) | instid1(VALU_DEP_1)
	v_fma_f64 v[8:9], -v[8:9], v[12:13], v[18:19]
	v_div_fmas_f64 v[8:9], v[8:9], v[10:11], v[12:13]
	v_mul_f64_e32 v[10:11], s[6:7], v[16:17]
	s_delay_alu instid0(VALU_DEP_2)
	v_div_fixup_f64 v[0:1], v[8:9], v[20:21], v[0:1]
	scratch_load_b64 v[8:9], off, off offset:248 th:TH_LOAD_LU ; 8-byte Folded Reload
	v_fmac_f64_e32 v[6:7], v[0:1], v[10:11]
	global_store_b64 v[4:5], v[6:7], off
	s_wait_xcnt 0x0
	v_mul_f64_e32 v[6:7], s[6:7], v[14:15]
	s_wait_loadcnt 0x0
	v_lshl_add_u64 v[8:9], v[8:9], 3, s[30:31]
	global_load_b64 v[4:5], v[8:9], off
	s_wait_loadcnt 0x0
	v_mul_f64_e32 v[4:5], s[4:5], v[4:5]
	s_delay_alu instid0(VALU_DEP_1)
	v_fmac_f64_e32 v[4:5], v[0:1], v[6:7]
	scratch_load_b64 v[6:7], off, off offset:340 th:TH_LOAD_LU ; 8-byte Folded Reload
	global_store_b64 v[8:9], v[4:5], off
	s_wait_loadcnt 0x0
	v_lshl_add_u64 v[6:7], v[6:7], 3, s[30:31]
	global_load_b64 v[4:5], v[6:7], off
	s_wait_loadcnt 0x0
	v_mul_f64_e32 v[4:5], s[4:5], v[4:5]
	s_delay_alu instid0(VALU_DEP_1)
	v_fmac_f64_e32 v[4:5], v[0:1], v[2:3]
	global_store_b64 v[6:7], v[4:5], off
.LBB4_13:
	s_sendmsg sendmsg(MSG_DEALLOC_VGPRS)
	s_endpgm
	.section	.rodata,"a",@progbits
	.p2align	6, 0x0
	.amdhsa_kernel _Z7kernel5iiiiiiiiiiiiiddPKdS0_S0_S0_S0_PdS0_S0_S0_S0_S0_S0_S0_
		.amdhsa_group_segment_fixed_size 0
		.amdhsa_private_segment_fixed_size 996
		.amdhsa_kernarg_size 432
		.amdhsa_user_sgpr_count 2
		.amdhsa_user_sgpr_dispatch_ptr 0
		.amdhsa_user_sgpr_queue_ptr 0
		.amdhsa_user_sgpr_kernarg_segment_ptr 1
		.amdhsa_user_sgpr_dispatch_id 0
		.amdhsa_user_sgpr_kernarg_preload_length 0
		.amdhsa_user_sgpr_kernarg_preload_offset 0
		.amdhsa_user_sgpr_private_segment_size 0
		.amdhsa_wavefront_size32 1
		.amdhsa_uses_dynamic_stack 0
		.amdhsa_enable_private_segment 1
		.amdhsa_system_sgpr_workgroup_id_x 1
		.amdhsa_system_sgpr_workgroup_id_y 1
		.amdhsa_system_sgpr_workgroup_id_z 1
		.amdhsa_system_sgpr_workgroup_info 0
		.amdhsa_system_vgpr_workitem_id 2
		.amdhsa_next_free_vgpr 128
		.amdhsa_next_free_sgpr 43
		.amdhsa_named_barrier_count 0
		.amdhsa_reserve_vcc 1
		.amdhsa_float_round_mode_32 0
		.amdhsa_float_round_mode_16_64 0
		.amdhsa_float_denorm_mode_32 3
		.amdhsa_float_denorm_mode_16_64 3
		.amdhsa_fp16_overflow 0
		.amdhsa_memory_ordered 1
		.amdhsa_forward_progress 1
		.amdhsa_inst_pref_size 117
		.amdhsa_round_robin_scheduling 0
		.amdhsa_exception_fp_ieee_invalid_op 0
		.amdhsa_exception_fp_denorm_src 0
		.amdhsa_exception_fp_ieee_div_zero 0
		.amdhsa_exception_fp_ieee_overflow 0
		.amdhsa_exception_fp_ieee_underflow 0
		.amdhsa_exception_fp_ieee_inexact 0
		.amdhsa_exception_int_div_zero 0
	.end_amdhsa_kernel
	.text
.Lfunc_end4:
	.size	_Z7kernel5iiiiiiiiiiiiiddPKdS0_S0_S0_S0_PdS0_S0_S0_S0_S0_S0_S0_, .Lfunc_end4-_Z7kernel5iiiiiiiiiiiiiddPKdS0_S0_S0_S0_PdS0_S0_S0_S0_S0_S0_S0_
                                        ; -- End function
	.set _Z7kernel5iiiiiiiiiiiiiddPKdS0_S0_S0_S0_PdS0_S0_S0_S0_S0_S0_S0_.num_vgpr, 128
	.set _Z7kernel5iiiiiiiiiiiiiddPKdS0_S0_S0_S0_PdS0_S0_S0_S0_S0_S0_S0_.num_agpr, 0
	.set _Z7kernel5iiiiiiiiiiiiiddPKdS0_S0_S0_S0_PdS0_S0_S0_S0_S0_S0_S0_.numbered_sgpr, 43
	.set _Z7kernel5iiiiiiiiiiiiiddPKdS0_S0_S0_S0_PdS0_S0_S0_S0_S0_S0_S0_.num_named_barrier, 0
	.set _Z7kernel5iiiiiiiiiiiiiddPKdS0_S0_S0_S0_PdS0_S0_S0_S0_S0_S0_S0_.private_seg_size, 996
	.set _Z7kernel5iiiiiiiiiiiiiddPKdS0_S0_S0_S0_PdS0_S0_S0_S0_S0_S0_S0_.uses_vcc, 1
	.set _Z7kernel5iiiiiiiiiiiiiddPKdS0_S0_S0_S0_PdS0_S0_S0_S0_S0_S0_S0_.uses_flat_scratch, 1
	.set _Z7kernel5iiiiiiiiiiiiiddPKdS0_S0_S0_S0_PdS0_S0_S0_S0_S0_S0_S0_.has_dyn_sized_stack, 0
	.set _Z7kernel5iiiiiiiiiiiiiddPKdS0_S0_S0_S0_PdS0_S0_S0_S0_S0_S0_S0_.has_recursion, 0
	.set _Z7kernel5iiiiiiiiiiiiiddPKdS0_S0_S0_S0_PdS0_S0_S0_S0_S0_S0_S0_.has_indirect_call, 0
	.section	.AMDGPU.csdata,"",@progbits
; Kernel info:
; codeLenInByte = 14868
; TotalNumSgprs: 45
; NumVgprs: 128
; ScratchSize: 996
; MemoryBound: 0
; FloatMode: 240
; IeeeMode: 1
; LDSByteSize: 0 bytes/workgroup (compile time only)
; SGPRBlocks: 0
; VGPRBlocks: 7
; NumSGPRsForWavesPerEU: 45
; NumVGPRsForWavesPerEU: 128
; NamedBarCnt: 0
; Occupancy: 8
; WaveLimiterHint : 0
; COMPUTE_PGM_RSRC2:SCRATCH_EN: 1
; COMPUTE_PGM_RSRC2:USER_SGPR: 2
; COMPUTE_PGM_RSRC2:TRAP_HANDLER: 0
; COMPUTE_PGM_RSRC2:TGID_X_EN: 1
; COMPUTE_PGM_RSRC2:TGID_Y_EN: 1
; COMPUTE_PGM_RSRC2:TGID_Z_EN: 1
; COMPUTE_PGM_RSRC2:TIDIG_COMP_CNT: 2
	.text
	.p2alignl 7, 3214868480
	.fill 96, 4, 3214868480
	.section	.AMDGPU.gpr_maximums,"",@progbits
	.set amdgpu.max_num_vgpr, 0
	.set amdgpu.max_num_agpr, 0
	.set amdgpu.max_num_sgpr, 0
	.text
	.type	__hip_cuid_808655d20ef57599,@object ; @__hip_cuid_808655d20ef57599
	.section	.bss,"aw",@nobits
	.globl	__hip_cuid_808655d20ef57599
__hip_cuid_808655d20ef57599:
	.byte	0                               ; 0x0
	.size	__hip_cuid_808655d20ef57599, 1

	.ident	"AMD clang version 22.0.0git (https://github.com/RadeonOpenCompute/llvm-project roc-7.2.4 26084 f58b06dce1f9c15707c5f808fd002e18c2accf7e)"
	.section	".note.GNU-stack","",@progbits
	.addrsig
	.addrsig_sym __hip_cuid_808655d20ef57599
	.amdgpu_metadata
---
amdhsa.kernels:
  - .args:
      - .offset:         0
        .size:           4
        .value_kind:     by_value
      - .offset:         4
        .size:           4
        .value_kind:     by_value
      - .offset:         8
        .size:           4
        .value_kind:     by_value
      - .offset:         12
        .size:           4
        .value_kind:     by_value
      - .offset:         16
        .size:           4
        .value_kind:     by_value
      - .offset:         20
        .size:           4
        .value_kind:     by_value
      - .offset:         24
        .size:           4
        .value_kind:     by_value
      - .offset:         28
        .size:           4
        .value_kind:     by_value
      - .offset:         32
        .size:           4
        .value_kind:     by_value
      - .offset:         36
        .size:           4
        .value_kind:     by_value
      - .offset:         40
        .size:           4
        .value_kind:     by_value
      - .offset:         44
        .size:           4
        .value_kind:     by_value
      - .offset:         48
        .size:           8
        .value_kind:     by_value
      - .offset:         56
        .size:           8
        .value_kind:     by_value
      - .actual_access:  read_only
        .address_space:  global
        .offset:         64
        .size:           8
        .value_kind:     global_buffer
      - .actual_access:  read_only
        .address_space:  global
        .offset:         72
        .size:           8
        .value_kind:     global_buffer
      - .actual_access:  read_only
        .address_space:  global
        .offset:         80
        .size:           8
        .value_kind:     global_buffer
      - .actual_access:  read_only
        .address_space:  global
        .offset:         88
        .size:           8
        .value_kind:     global_buffer
      - .actual_access:  read_only
        .address_space:  global
        .offset:         96
        .size:           8
        .value_kind:     global_buffer
      - .address_space:  global
        .offset:         104
        .size:           8
        .value_kind:     global_buffer
      - .actual_access:  read_only
        .address_space:  global
        .offset:         112
        .size:           8
        .value_kind:     global_buffer
      - .actual_access:  read_only
        .address_space:  global
        .offset:         120
        .size:           8
        .value_kind:     global_buffer
      - .actual_access:  read_only
        .address_space:  global
        .offset:         128
        .size:           8
        .value_kind:     global_buffer
      - .actual_access:  read_only
        .address_space:  global
        .offset:         136
        .size:           8
        .value_kind:     global_buffer
      - .actual_access:  read_only
        .address_space:  global
        .offset:         144
        .size:           8
        .value_kind:     global_buffer
      - .actual_access:  read_only
        .address_space:  global
        .offset:         152
        .size:           8
        .value_kind:     global_buffer
      - .actual_access:  read_only
        .address_space:  global
        .offset:         160
        .size:           8
        .value_kind:     global_buffer
      - .offset:         168
        .size:           4
        .value_kind:     hidden_block_count_x
      - .offset:         172
        .size:           4
        .value_kind:     hidden_block_count_y
      - .offset:         176
        .size:           4
        .value_kind:     hidden_block_count_z
      - .offset:         180
        .size:           2
        .value_kind:     hidden_group_size_x
      - .offset:         182
        .size:           2
        .value_kind:     hidden_group_size_y
      - .offset:         184
        .size:           2
        .value_kind:     hidden_group_size_z
      - .offset:         186
        .size:           2
        .value_kind:     hidden_remainder_x
      - .offset:         188
        .size:           2
        .value_kind:     hidden_remainder_y
      - .offset:         190
        .size:           2
        .value_kind:     hidden_remainder_z
      - .offset:         208
        .size:           8
        .value_kind:     hidden_global_offset_x
      - .offset:         216
        .size:           8
        .value_kind:     hidden_global_offset_y
      - .offset:         224
        .size:           8
        .value_kind:     hidden_global_offset_z
      - .offset:         232
        .size:           2
        .value_kind:     hidden_grid_dims
    .group_segment_fixed_size: 0
    .kernarg_segment_align: 8
    .kernarg_segment_size: 424
    .language:       OpenCL C
    .language_version:
      - 2
      - 0
    .max_flat_workgroup_size: 1024
    .name:           _Z7kernel1iiiiiiiiiiiiddPKdS0_S0_S0_S0_PdS0_S0_S0_S0_S0_S0_S0_
    .private_segment_fixed_size: 1000
    .sgpr_count:     50
    .sgpr_spill_count: 0
    .symbol:         _Z7kernel1iiiiiiiiiiiiddPKdS0_S0_S0_S0_PdS0_S0_S0_S0_S0_S0_S0_.kd
    .uniform_work_group_size: 1
    .uses_dynamic_stack: false
    .vgpr_count:     128
    .vgpr_spill_count: 291
    .wavefront_size: 32
  - .args:
      - .offset:         0
        .size:           4
        .value_kind:     by_value
      - .offset:         4
        .size:           4
        .value_kind:     by_value
      - .offset:         8
        .size:           4
        .value_kind:     by_value
      - .offset:         12
        .size:           4
        .value_kind:     by_value
      - .offset:         16
        .size:           4
        .value_kind:     by_value
      - .offset:         20
        .size:           4
        .value_kind:     by_value
      - .offset:         24
        .size:           4
        .value_kind:     by_value
      - .offset:         28
        .size:           4
        .value_kind:     by_value
      - .offset:         32
        .size:           4
        .value_kind:     by_value
      - .offset:         36
        .size:           4
        .value_kind:     by_value
      - .offset:         40
        .size:           4
        .value_kind:     by_value
      - .offset:         44
        .size:           4
        .value_kind:     by_value
      - .offset:         48
        .size:           8
        .value_kind:     by_value
      - .offset:         56
        .size:           8
        .value_kind:     by_value
      - .actual_access:  read_only
        .address_space:  global
        .offset:         64
        .size:           8
        .value_kind:     global_buffer
      - .actual_access:  read_only
        .address_space:  global
        .offset:         72
        .size:           8
        .value_kind:     global_buffer
      - .actual_access:  read_only
        .address_space:  global
        .offset:         80
        .size:           8
        .value_kind:     global_buffer
      - .actual_access:  read_only
        .address_space:  global
        .offset:         88
        .size:           8
        .value_kind:     global_buffer
      - .actual_access:  read_only
        .address_space:  global
        .offset:         96
        .size:           8
        .value_kind:     global_buffer
      - .address_space:  global
        .offset:         104
        .size:           8
        .value_kind:     global_buffer
      - .actual_access:  read_only
        .address_space:  global
        .offset:         112
        .size:           8
        .value_kind:     global_buffer
      - .actual_access:  read_only
        .address_space:  global
        .offset:         120
        .size:           8
        .value_kind:     global_buffer
      - .actual_access:  read_only
        .address_space:  global
        .offset:         128
        .size:           8
        .value_kind:     global_buffer
      - .actual_access:  read_only
        .address_space:  global
        .offset:         136
        .size:           8
        .value_kind:     global_buffer
      - .actual_access:  read_only
        .address_space:  global
        .offset:         144
        .size:           8
        .value_kind:     global_buffer
      - .actual_access:  read_only
        .address_space:  global
        .offset:         152
        .size:           8
        .value_kind:     global_buffer
      - .actual_access:  read_only
        .address_space:  global
        .offset:         160
        .size:           8
        .value_kind:     global_buffer
      - .offset:         168
        .size:           4
        .value_kind:     hidden_block_count_x
      - .offset:         172
        .size:           4
        .value_kind:     hidden_block_count_y
      - .offset:         176
        .size:           4
        .value_kind:     hidden_block_count_z
      - .offset:         180
        .size:           2
        .value_kind:     hidden_group_size_x
      - .offset:         182
        .size:           2
        .value_kind:     hidden_group_size_y
      - .offset:         184
        .size:           2
        .value_kind:     hidden_group_size_z
      - .offset:         186
        .size:           2
        .value_kind:     hidden_remainder_x
      - .offset:         188
        .size:           2
        .value_kind:     hidden_remainder_y
      - .offset:         190
        .size:           2
        .value_kind:     hidden_remainder_z
      - .offset:         208
        .size:           8
        .value_kind:     hidden_global_offset_x
      - .offset:         216
        .size:           8
        .value_kind:     hidden_global_offset_y
      - .offset:         224
        .size:           8
        .value_kind:     hidden_global_offset_z
      - .offset:         232
        .size:           2
        .value_kind:     hidden_grid_dims
    .group_segment_fixed_size: 0
    .kernarg_segment_align: 8
    .kernarg_segment_size: 424
    .language:       OpenCL C
    .language_version:
      - 2
      - 0
    .max_flat_workgroup_size: 1024
    .name:           _Z7kernel2iiiiiiiiiiiiddPKdS0_S0_S0_S0_PdS0_S0_S0_S0_S0_S0_S0_
    .private_segment_fixed_size: 716
    .sgpr_count:     30
    .sgpr_spill_count: 0
    .symbol:         _Z7kernel2iiiiiiiiiiiiddPKdS0_S0_S0_S0_PdS0_S0_S0_S0_S0_S0_S0_.kd
    .uniform_work_group_size: 1
    .uses_dynamic_stack: false
    .vgpr_count:     128
    .vgpr_spill_count: 210
    .wavefront_size: 32
  - .args:
      - .offset:         0
        .size:           4
        .value_kind:     by_value
      - .offset:         4
        .size:           4
        .value_kind:     by_value
      - .offset:         8
        .size:           4
        .value_kind:     by_value
      - .offset:         12
        .size:           4
        .value_kind:     by_value
      - .offset:         16
        .size:           4
        .value_kind:     by_value
      - .offset:         20
        .size:           4
        .value_kind:     by_value
      - .offset:         24
        .size:           4
        .value_kind:     by_value
      - .offset:         28
        .size:           4
        .value_kind:     by_value
      - .offset:         32
        .size:           4
        .value_kind:     by_value
      - .offset:         36
        .size:           4
        .value_kind:     by_value
      - .offset:         40
        .size:           4
        .value_kind:     by_value
      - .offset:         44
        .size:           4
        .value_kind:     by_value
      - .offset:         48
        .size:           8
        .value_kind:     by_value
      - .offset:         56
        .size:           8
        .value_kind:     by_value
      - .actual_access:  read_only
        .address_space:  global
        .offset:         64
        .size:           8
        .value_kind:     global_buffer
      - .actual_access:  read_only
        .address_space:  global
        .offset:         72
        .size:           8
        .value_kind:     global_buffer
      - .actual_access:  read_only
        .address_space:  global
        .offset:         80
        .size:           8
        .value_kind:     global_buffer
      - .actual_access:  read_only
        .address_space:  global
        .offset:         88
        .size:           8
        .value_kind:     global_buffer
      - .actual_access:  read_only
        .address_space:  global
        .offset:         96
        .size:           8
        .value_kind:     global_buffer
      - .address_space:  global
        .offset:         104
        .size:           8
        .value_kind:     global_buffer
      - .actual_access:  read_only
        .address_space:  global
        .offset:         112
        .size:           8
        .value_kind:     global_buffer
      - .actual_access:  read_only
        .address_space:  global
        .offset:         120
        .size:           8
        .value_kind:     global_buffer
      - .actual_access:  read_only
        .address_space:  global
        .offset:         128
        .size:           8
        .value_kind:     global_buffer
      - .actual_access:  read_only
        .address_space:  global
        .offset:         136
        .size:           8
        .value_kind:     global_buffer
      - .actual_access:  read_only
        .address_space:  global
        .offset:         144
        .size:           8
        .value_kind:     global_buffer
      - .actual_access:  read_only
        .address_space:  global
        .offset:         152
        .size:           8
        .value_kind:     global_buffer
      - .actual_access:  read_only
        .address_space:  global
        .offset:         160
        .size:           8
        .value_kind:     global_buffer
      - .offset:         168
        .size:           4
        .value_kind:     hidden_block_count_x
      - .offset:         172
        .size:           4
        .value_kind:     hidden_block_count_y
      - .offset:         176
        .size:           4
        .value_kind:     hidden_block_count_z
      - .offset:         180
        .size:           2
        .value_kind:     hidden_group_size_x
      - .offset:         182
        .size:           2
        .value_kind:     hidden_group_size_y
      - .offset:         184
        .size:           2
        .value_kind:     hidden_group_size_z
      - .offset:         186
        .size:           2
        .value_kind:     hidden_remainder_x
      - .offset:         188
        .size:           2
        .value_kind:     hidden_remainder_y
      - .offset:         190
        .size:           2
        .value_kind:     hidden_remainder_z
      - .offset:         208
        .size:           8
        .value_kind:     hidden_global_offset_x
      - .offset:         216
        .size:           8
        .value_kind:     hidden_global_offset_y
      - .offset:         224
        .size:           8
        .value_kind:     hidden_global_offset_z
      - .offset:         232
        .size:           2
        .value_kind:     hidden_grid_dims
    .group_segment_fixed_size: 0
    .kernarg_segment_align: 8
    .kernarg_segment_size: 424
    .language:       OpenCL C
    .language_version:
      - 2
      - 0
    .max_flat_workgroup_size: 1024
    .name:           _Z7kernel3iiiiiiiiiiiiddPKdS0_S0_S0_S0_PdS0_S0_S0_S0_S0_S0_S0_
    .private_segment_fixed_size: 768
    .sgpr_count:     31
    .sgpr_spill_count: 0
    .symbol:         _Z7kernel3iiiiiiiiiiiiddPKdS0_S0_S0_S0_PdS0_S0_S0_S0_S0_S0_S0_.kd
    .uniform_work_group_size: 1
    .uses_dynamic_stack: false
    .vgpr_count:     128
    .vgpr_spill_count: 234
    .wavefront_size: 32
  - .args:
      - .offset:         0
        .size:           4
        .value_kind:     by_value
      - .offset:         4
        .size:           4
        .value_kind:     by_value
      - .offset:         8
        .size:           4
        .value_kind:     by_value
      - .offset:         12
        .size:           4
        .value_kind:     by_value
      - .offset:         16
        .size:           4
        .value_kind:     by_value
      - .offset:         20
        .size:           4
        .value_kind:     by_value
      - .offset:         24
        .size:           4
        .value_kind:     by_value
      - .offset:         28
        .size:           4
        .value_kind:     by_value
      - .offset:         32
        .size:           4
        .value_kind:     by_value
      - .offset:         36
        .size:           4
        .value_kind:     by_value
      - .offset:         40
        .size:           4
        .value_kind:     by_value
      - .offset:         44
        .size:           4
        .value_kind:     by_value
      - .offset:         48
        .size:           8
        .value_kind:     by_value
      - .offset:         56
        .size:           8
        .value_kind:     by_value
      - .actual_access:  read_only
        .address_space:  global
        .offset:         64
        .size:           8
        .value_kind:     global_buffer
      - .actual_access:  read_only
        .address_space:  global
        .offset:         72
        .size:           8
        .value_kind:     global_buffer
      - .actual_access:  read_only
        .address_space:  global
        .offset:         80
        .size:           8
        .value_kind:     global_buffer
      - .actual_access:  read_only
        .address_space:  global
        .offset:         88
        .size:           8
        .value_kind:     global_buffer
      - .actual_access:  read_only
        .address_space:  global
        .offset:         96
        .size:           8
        .value_kind:     global_buffer
      - .address_space:  global
        .offset:         104
        .size:           8
        .value_kind:     global_buffer
      - .actual_access:  read_only
        .address_space:  global
        .offset:         112
        .size:           8
        .value_kind:     global_buffer
      - .actual_access:  read_only
        .address_space:  global
        .offset:         120
        .size:           8
        .value_kind:     global_buffer
      - .actual_access:  read_only
        .address_space:  global
        .offset:         128
        .size:           8
        .value_kind:     global_buffer
      - .actual_access:  read_only
        .address_space:  global
        .offset:         136
        .size:           8
        .value_kind:     global_buffer
      - .actual_access:  read_only
        .address_space:  global
        .offset:         144
        .size:           8
        .value_kind:     global_buffer
      - .actual_access:  read_only
        .address_space:  global
        .offset:         152
        .size:           8
        .value_kind:     global_buffer
      - .actual_access:  read_only
        .address_space:  global
        .offset:         160
        .size:           8
        .value_kind:     global_buffer
      - .offset:         168
        .size:           4
        .value_kind:     hidden_block_count_x
      - .offset:         172
        .size:           4
        .value_kind:     hidden_block_count_y
      - .offset:         176
        .size:           4
        .value_kind:     hidden_block_count_z
      - .offset:         180
        .size:           2
        .value_kind:     hidden_group_size_x
      - .offset:         182
        .size:           2
        .value_kind:     hidden_group_size_y
      - .offset:         184
        .size:           2
        .value_kind:     hidden_group_size_z
      - .offset:         186
        .size:           2
        .value_kind:     hidden_remainder_x
      - .offset:         188
        .size:           2
        .value_kind:     hidden_remainder_y
      - .offset:         190
        .size:           2
        .value_kind:     hidden_remainder_z
      - .offset:         208
        .size:           8
        .value_kind:     hidden_global_offset_x
      - .offset:         216
        .size:           8
        .value_kind:     hidden_global_offset_y
      - .offset:         224
        .size:           8
        .value_kind:     hidden_global_offset_z
      - .offset:         232
        .size:           2
        .value_kind:     hidden_grid_dims
    .group_segment_fixed_size: 0
    .kernarg_segment_align: 8
    .kernarg_segment_size: 424
    .language:       OpenCL C
    .language_version:
      - 2
      - 0
    .max_flat_workgroup_size: 1024
    .name:           _Z7kernel4iiiiiiiiiiiiddPKdS0_S0_S0_S0_PdS0_S0_S0_S0_S0_S0_S0_
    .private_segment_fixed_size: 248
    .sgpr_count:     34
    .sgpr_spill_count: 0
    .symbol:         _Z7kernel4iiiiiiiiiiiiddPKdS0_S0_S0_S0_PdS0_S0_S0_S0_S0_S0_S0_.kd
    .uniform_work_group_size: 1
    .uses_dynamic_stack: false
    .vgpr_count:     128
    .vgpr_spill_count: 61
    .wavefront_size: 32
  - .args:
      - .offset:         0
        .size:           4
        .value_kind:     by_value
      - .offset:         4
        .size:           4
        .value_kind:     by_value
      - .offset:         8
        .size:           4
        .value_kind:     by_value
      - .offset:         12
        .size:           4
        .value_kind:     by_value
      - .offset:         16
        .size:           4
        .value_kind:     by_value
      - .offset:         20
        .size:           4
        .value_kind:     by_value
      - .offset:         24
        .size:           4
        .value_kind:     by_value
      - .offset:         28
        .size:           4
        .value_kind:     by_value
      - .offset:         32
        .size:           4
        .value_kind:     by_value
      - .offset:         36
        .size:           4
        .value_kind:     by_value
      - .offset:         40
        .size:           4
        .value_kind:     by_value
      - .offset:         44
        .size:           4
        .value_kind:     by_value
      - .offset:         48
        .size:           4
        .value_kind:     by_value
      - .offset:         56
        .size:           8
        .value_kind:     by_value
      - .offset:         64
        .size:           8
        .value_kind:     by_value
      - .actual_access:  read_only
        .address_space:  global
        .offset:         72
        .size:           8
        .value_kind:     global_buffer
      - .actual_access:  read_only
        .address_space:  global
        .offset:         80
        .size:           8
        .value_kind:     global_buffer
      - .actual_access:  read_only
        .address_space:  global
        .offset:         88
        .size:           8
        .value_kind:     global_buffer
      - .actual_access:  read_only
        .address_space:  global
        .offset:         96
        .size:           8
        .value_kind:     global_buffer
      - .actual_access:  read_only
        .address_space:  global
        .offset:         104
        .size:           8
        .value_kind:     global_buffer
      - .address_space:  global
        .offset:         112
        .size:           8
        .value_kind:     global_buffer
      - .actual_access:  read_only
        .address_space:  global
        .offset:         120
        .size:           8
        .value_kind:     global_buffer
      - .actual_access:  read_only
        .address_space:  global
        .offset:         128
        .size:           8
        .value_kind:     global_buffer
      - .actual_access:  read_only
        .address_space:  global
        .offset:         136
        .size:           8
        .value_kind:     global_buffer
      - .actual_access:  read_only
        .address_space:  global
        .offset:         144
        .size:           8
        .value_kind:     global_buffer
      - .actual_access:  read_only
        .address_space:  global
        .offset:         152
        .size:           8
        .value_kind:     global_buffer
      - .actual_access:  read_only
        .address_space:  global
        .offset:         160
        .size:           8
        .value_kind:     global_buffer
      - .actual_access:  read_only
        .address_space:  global
        .offset:         168
        .size:           8
        .value_kind:     global_buffer
      - .offset:         176
        .size:           4
        .value_kind:     hidden_block_count_x
      - .offset:         180
        .size:           4
        .value_kind:     hidden_block_count_y
      - .offset:         184
        .size:           4
        .value_kind:     hidden_block_count_z
      - .offset:         188
        .size:           2
        .value_kind:     hidden_group_size_x
      - .offset:         190
        .size:           2
        .value_kind:     hidden_group_size_y
      - .offset:         192
        .size:           2
        .value_kind:     hidden_group_size_z
      - .offset:         194
        .size:           2
        .value_kind:     hidden_remainder_x
      - .offset:         196
        .size:           2
        .value_kind:     hidden_remainder_y
      - .offset:         198
        .size:           2
        .value_kind:     hidden_remainder_z
      - .offset:         216
        .size:           8
        .value_kind:     hidden_global_offset_x
      - .offset:         224
        .size:           8
        .value_kind:     hidden_global_offset_y
      - .offset:         232
        .size:           8
        .value_kind:     hidden_global_offset_z
      - .offset:         240
        .size:           2
        .value_kind:     hidden_grid_dims
    .group_segment_fixed_size: 0
    .kernarg_segment_align: 8
    .kernarg_segment_size: 432
    .language:       OpenCL C
    .language_version:
      - 2
      - 0
    .max_flat_workgroup_size: 1024
    .name:           _Z7kernel5iiiiiiiiiiiiiddPKdS0_S0_S0_S0_PdS0_S0_S0_S0_S0_S0_S0_
    .private_segment_fixed_size: 996
    .sgpr_count:     45
    .sgpr_spill_count: 0
    .symbol:         _Z7kernel5iiiiiiiiiiiiiddPKdS0_S0_S0_S0_PdS0_S0_S0_S0_S0_S0_S0_.kd
    .uniform_work_group_size: 1
    .uses_dynamic_stack: false
    .vgpr_count:     128
    .vgpr_spill_count: 292
    .wavefront_size: 32
amdhsa.target:   amdgcn-amd-amdhsa--gfx1250
amdhsa.version:
  - 1
  - 2
...

	.end_amdgpu_metadata
